;; amdgpu-corpus repo=ROCm/rocFFT kind=compiled arch=gfx1030 opt=O3
	.text
	.amdgcn_target "amdgcn-amd-amdhsa--gfx1030"
	.amdhsa_code_object_version 6
	.protected	fft_rtc_fwd_len1625_factors_13_5_5_5_wgs_130_tpt_65_halfLds_half_ip_CI_sbrr_dirReg ; -- Begin function fft_rtc_fwd_len1625_factors_13_5_5_5_wgs_130_tpt_65_halfLds_half_ip_CI_sbrr_dirReg
	.globl	fft_rtc_fwd_len1625_factors_13_5_5_5_wgs_130_tpt_65_halfLds_half_ip_CI_sbrr_dirReg
	.p2align	8
	.type	fft_rtc_fwd_len1625_factors_13_5_5_5_wgs_130_tpt_65_halfLds_half_ip_CI_sbrr_dirReg,@function
fft_rtc_fwd_len1625_factors_13_5_5_5_wgs_130_tpt_65_halfLds_half_ip_CI_sbrr_dirReg: ; @fft_rtc_fwd_len1625_factors_13_5_5_5_wgs_130_tpt_65_halfLds_half_ip_CI_sbrr_dirReg
; %bb.0:
	s_clause 0x2
	s_load_dwordx2 s[14:15], s[4:5], 0x18
	s_load_dwordx4 s[8:11], s[4:5], 0x0
	s_load_dwordx2 s[12:13], s[4:5], 0x50
	v_mul_u32_u24_e32 v1, 0x3f1, v0
	v_mov_b32_e32 v3, 0
	v_lshrrev_b32_e32 v9, 16, v1
	v_mov_b32_e32 v1, 0
	v_mov_b32_e32 v6, v3
	v_mov_b32_e32 v2, 0
	v_lshl_add_u32 v5, s6, 1, v9
	s_waitcnt lgkmcnt(0)
	s_load_dwordx2 s[2:3], s[14:15], 0x0
	v_cmp_lt_u64_e64 s0, s[10:11], 2
	s_and_b32 vcc_lo, exec_lo, s0
	s_cbranch_vccnz .LBB0_8
; %bb.1:
	s_load_dwordx2 s[0:1], s[4:5], 0x10
	v_mov_b32_e32 v1, 0
	s_add_u32 s6, s14, 8
	v_mov_b32_e32 v2, 0
	s_addc_u32 s7, s15, 0
	s_mov_b64 s[18:19], 1
	s_waitcnt lgkmcnt(0)
	s_add_u32 s16, s0, 8
	s_addc_u32 s17, s1, 0
.LBB0_2:                                ; =>This Inner Loop Header: Depth=1
	s_load_dwordx2 s[20:21], s[16:17], 0x0
                                        ; implicit-def: $vgpr7_vgpr8
	s_mov_b32 s0, exec_lo
	s_waitcnt lgkmcnt(0)
	v_or_b32_e32 v4, s21, v6
	v_cmpx_ne_u64_e32 0, v[3:4]
	s_xor_b32 s1, exec_lo, s0
	s_cbranch_execz .LBB0_4
; %bb.3:                                ;   in Loop: Header=BB0_2 Depth=1
	v_cvt_f32_u32_e32 v4, s20
	v_cvt_f32_u32_e32 v7, s21
	s_sub_u32 s0, 0, s20
	s_subb_u32 s22, 0, s21
	v_fmac_f32_e32 v4, 0x4f800000, v7
	v_rcp_f32_e32 v4, v4
	v_mul_f32_e32 v4, 0x5f7ffffc, v4
	v_mul_f32_e32 v7, 0x2f800000, v4
	v_trunc_f32_e32 v7, v7
	v_fmac_f32_e32 v4, 0xcf800000, v7
	v_cvt_u32_f32_e32 v7, v7
	v_cvt_u32_f32_e32 v4, v4
	v_mul_lo_u32 v8, s0, v7
	v_mul_hi_u32 v10, s0, v4
	v_mul_lo_u32 v11, s22, v4
	v_add_nc_u32_e32 v8, v10, v8
	v_mul_lo_u32 v10, s0, v4
	v_add_nc_u32_e32 v8, v8, v11
	v_mul_hi_u32 v11, v4, v10
	v_mul_lo_u32 v12, v4, v8
	v_mul_hi_u32 v13, v4, v8
	v_mul_hi_u32 v14, v7, v10
	v_mul_lo_u32 v10, v7, v10
	v_mul_hi_u32 v15, v7, v8
	v_mul_lo_u32 v8, v7, v8
	v_add_co_u32 v11, vcc_lo, v11, v12
	v_add_co_ci_u32_e32 v12, vcc_lo, 0, v13, vcc_lo
	v_add_co_u32 v10, vcc_lo, v11, v10
	v_add_co_ci_u32_e32 v10, vcc_lo, v12, v14, vcc_lo
	v_add_co_ci_u32_e32 v11, vcc_lo, 0, v15, vcc_lo
	v_add_co_u32 v8, vcc_lo, v10, v8
	v_add_co_ci_u32_e32 v10, vcc_lo, 0, v11, vcc_lo
	v_add_co_u32 v4, vcc_lo, v4, v8
	v_add_co_ci_u32_e32 v7, vcc_lo, v7, v10, vcc_lo
	v_mul_hi_u32 v8, s0, v4
	v_mul_lo_u32 v11, s22, v4
	v_mul_lo_u32 v10, s0, v7
	v_add_nc_u32_e32 v8, v8, v10
	v_mul_lo_u32 v10, s0, v4
	v_add_nc_u32_e32 v8, v8, v11
	v_mul_hi_u32 v11, v4, v10
	v_mul_lo_u32 v12, v4, v8
	v_mul_hi_u32 v13, v4, v8
	v_mul_hi_u32 v14, v7, v10
	v_mul_lo_u32 v10, v7, v10
	v_mul_hi_u32 v15, v7, v8
	v_mul_lo_u32 v8, v7, v8
	v_add_co_u32 v11, vcc_lo, v11, v12
	v_add_co_ci_u32_e32 v12, vcc_lo, 0, v13, vcc_lo
	v_add_co_u32 v10, vcc_lo, v11, v10
	v_add_co_ci_u32_e32 v10, vcc_lo, v12, v14, vcc_lo
	v_add_co_ci_u32_e32 v11, vcc_lo, 0, v15, vcc_lo
	v_add_co_u32 v8, vcc_lo, v10, v8
	v_add_co_ci_u32_e32 v10, vcc_lo, 0, v11, vcc_lo
	v_add_co_u32 v4, vcc_lo, v4, v8
	v_add_co_ci_u32_e32 v12, vcc_lo, v7, v10, vcc_lo
	v_mul_hi_u32 v14, v5, v4
	v_mad_u64_u32 v[10:11], null, v6, v4, 0
	v_mad_u64_u32 v[7:8], null, v5, v12, 0
	;; [unrolled: 1-line block ×3, first 2 shown]
	v_add_co_u32 v4, vcc_lo, v14, v7
	v_add_co_ci_u32_e32 v7, vcc_lo, 0, v8, vcc_lo
	v_add_co_u32 v4, vcc_lo, v4, v10
	v_add_co_ci_u32_e32 v4, vcc_lo, v7, v11, vcc_lo
	v_add_co_ci_u32_e32 v7, vcc_lo, 0, v13, vcc_lo
	v_add_co_u32 v4, vcc_lo, v4, v12
	v_add_co_ci_u32_e32 v10, vcc_lo, 0, v7, vcc_lo
	v_mul_lo_u32 v11, s21, v4
	v_mad_u64_u32 v[7:8], null, s20, v4, 0
	v_mul_lo_u32 v12, s20, v10
	v_sub_co_u32 v7, vcc_lo, v5, v7
	v_add3_u32 v8, v8, v12, v11
	v_sub_nc_u32_e32 v11, v6, v8
	v_subrev_co_ci_u32_e64 v11, s0, s21, v11, vcc_lo
	v_add_co_u32 v12, s0, v4, 2
	v_add_co_ci_u32_e64 v13, s0, 0, v10, s0
	v_sub_co_u32 v14, s0, v7, s20
	v_sub_co_ci_u32_e32 v8, vcc_lo, v6, v8, vcc_lo
	v_subrev_co_ci_u32_e64 v11, s0, 0, v11, s0
	v_cmp_le_u32_e32 vcc_lo, s20, v14
	v_cmp_eq_u32_e64 s0, s21, v8
	v_cndmask_b32_e64 v14, 0, -1, vcc_lo
	v_cmp_le_u32_e32 vcc_lo, s21, v11
	v_cndmask_b32_e64 v15, 0, -1, vcc_lo
	v_cmp_le_u32_e32 vcc_lo, s20, v7
	;; [unrolled: 2-line block ×3, first 2 shown]
	v_cndmask_b32_e64 v16, 0, -1, vcc_lo
	v_cmp_eq_u32_e32 vcc_lo, s21, v11
	v_cndmask_b32_e64 v7, v16, v7, s0
	v_cndmask_b32_e32 v11, v15, v14, vcc_lo
	v_add_co_u32 v14, vcc_lo, v4, 1
	v_add_co_ci_u32_e32 v15, vcc_lo, 0, v10, vcc_lo
	v_cmp_ne_u32_e32 vcc_lo, 0, v11
	v_cndmask_b32_e32 v8, v15, v13, vcc_lo
	v_cndmask_b32_e32 v11, v14, v12, vcc_lo
	v_cmp_ne_u32_e32 vcc_lo, 0, v7
	v_cndmask_b32_e32 v8, v10, v8, vcc_lo
	v_cndmask_b32_e32 v7, v4, v11, vcc_lo
.LBB0_4:                                ;   in Loop: Header=BB0_2 Depth=1
	s_andn2_saveexec_b32 s0, s1
	s_cbranch_execz .LBB0_6
; %bb.5:                                ;   in Loop: Header=BB0_2 Depth=1
	v_cvt_f32_u32_e32 v4, s20
	s_sub_i32 s1, 0, s20
	v_rcp_iflag_f32_e32 v4, v4
	v_mul_f32_e32 v4, 0x4f7ffffe, v4
	v_cvt_u32_f32_e32 v4, v4
	v_mul_lo_u32 v7, s1, v4
	v_mul_hi_u32 v7, v4, v7
	v_add_nc_u32_e32 v4, v4, v7
	v_mul_hi_u32 v4, v5, v4
	v_mul_lo_u32 v7, v4, s20
	v_add_nc_u32_e32 v8, 1, v4
	v_sub_nc_u32_e32 v7, v5, v7
	v_subrev_nc_u32_e32 v10, s20, v7
	v_cmp_le_u32_e32 vcc_lo, s20, v7
	v_cndmask_b32_e32 v7, v7, v10, vcc_lo
	v_cndmask_b32_e32 v4, v4, v8, vcc_lo
	v_cmp_le_u32_e32 vcc_lo, s20, v7
	v_add_nc_u32_e32 v8, 1, v4
	v_cndmask_b32_e32 v7, v4, v8, vcc_lo
	v_mov_b32_e32 v8, v3
.LBB0_6:                                ;   in Loop: Header=BB0_2 Depth=1
	s_or_b32 exec_lo, exec_lo, s0
	s_load_dwordx2 s[0:1], s[6:7], 0x0
	v_mul_lo_u32 v4, v8, s20
	v_mul_lo_u32 v12, v7, s21
	v_mad_u64_u32 v[10:11], null, v7, s20, 0
	s_add_u32 s18, s18, 1
	s_addc_u32 s19, s19, 0
	s_add_u32 s6, s6, 8
	s_addc_u32 s7, s7, 0
	s_add_u32 s16, s16, 8
	s_addc_u32 s17, s17, 0
	v_add3_u32 v4, v11, v12, v4
	v_sub_co_u32 v5, vcc_lo, v5, v10
	v_sub_co_ci_u32_e32 v4, vcc_lo, v6, v4, vcc_lo
	s_waitcnt lgkmcnt(0)
	v_mul_lo_u32 v6, s1, v5
	v_mul_lo_u32 v4, s0, v4
	v_mad_u64_u32 v[1:2], null, s0, v5, v[1:2]
	v_cmp_ge_u64_e64 s0, s[18:19], s[10:11]
	s_and_b32 vcc_lo, exec_lo, s0
	v_add3_u32 v2, v6, v2, v4
	s_cbranch_vccnz .LBB0_9
; %bb.7:                                ;   in Loop: Header=BB0_2 Depth=1
	v_mov_b32_e32 v5, v7
	v_mov_b32_e32 v6, v8
	s_branch .LBB0_2
.LBB0_8:
	v_mov_b32_e32 v8, v6
	v_mov_b32_e32 v7, v5
.LBB0_9:
	s_lshl_b64 s[0:1], s[10:11], 3
	v_mul_hi_u32 v3, 0x3f03f04, v0
	s_add_u32 s0, s14, s0
	s_addc_u32 s1, s15, s1
	v_mov_b32_e32 v31, 0
	s_load_dwordx2 s[0:1], s[0:1], 0x0
	s_load_dwordx2 s[4:5], s[4:5], 0x20
                                        ; implicit-def: $vgpr30
                                        ; implicit-def: $vgpr29
                                        ; implicit-def: $vgpr44
                                        ; implicit-def: $vgpr45
                                        ; implicit-def: $vgpr43
                                        ; implicit-def: $vgpr42
                                        ; implicit-def: $vgpr39
                                        ; implicit-def: $vgpr32
                                        ; implicit-def: $vgpr6
                                        ; implicit-def: $vgpr66
                                        ; implicit-def: $vgpr36
                                        ; implicit-def: $vgpr64
                                        ; implicit-def: $vgpr35
                                        ; implicit-def: $vgpr59
                                        ; implicit-def: $vgpr26
                                        ; implicit-def: $vgpr57
                                        ; implicit-def: $vgpr25
                                        ; implicit-def: $vgpr37
                                        ; implicit-def: $vgpr17
                                        ; implicit-def: $vgpr24
                                        ; implicit-def: $vgpr16
                                        ; implicit-def: $vgpr65
                                        ; implicit-def: $vgpr10
                                        ; implicit-def: $vgpr58
                                        ; implicit-def: $vgpr11
                                        ; implicit-def: $vgpr55
                                        ; implicit-def: $vgpr12
                                        ; implicit-def: $vgpr48
                                        ; implicit-def: $vgpr13
                                        ; implicit-def: $vgpr46
                                        ; implicit-def: $vgpr14
                                        ; implicit-def: $vgpr18
                                        ; implicit-def: $vgpr33
                                        ; implicit-def: $vgpr28
                                        ; implicit-def: $vgpr34
                                        ; implicit-def: $vgpr27
                                        ; implicit-def: $vgpr38
                                        ; implicit-def: $vgpr23
                                        ; implicit-def: $vgpr40
                                        ; implicit-def: $vgpr19
                                        ; implicit-def: $vgpr41
                                        ; implicit-def: $vgpr15
                                        ; implicit-def: $vgpr47
	v_mul_u32_u24_e32 v3, 0x41, v3
	v_sub_nc_u32_e32 v22, v0, v3
	v_mov_b32_e32 v0, 0
                                        ; implicit-def: $vgpr3
	s_waitcnt lgkmcnt(0)
	v_mul_lo_u32 v4, s0, v8
	v_mul_lo_u32 v5, s1, v7
	v_mad_u64_u32 v[1:2], null, s0, v7, v[1:2]
	v_cmp_gt_u64_e32 vcc_lo, s[4:5], v[7:8]
                                        ; implicit-def: $vgpr8
                                        ; implicit-def: $vgpr7
	v_add3_u32 v2, v5, v2, v4
                                        ; implicit-def: $vgpr4
                                        ; implicit-def: $vgpr5
	v_lshlrev_b64 v[20:21], 2, v[1:2]
                                        ; implicit-def: $vgpr1
                                        ; implicit-def: $vgpr2
	s_and_saveexec_b32 s1, vcc_lo
	s_cbranch_execz .LBB0_13
; %bb.10:
	v_add_nc_u32_e32 v7, 0x7d, v22
	v_mad_u64_u32 v[0:1], null, s2, v22, 0
	v_add_nc_u32_e32 v10, 0xfa, v22
	v_add_nc_u32_e32 v13, 0x177, v22
	v_mad_u64_u32 v[2:3], null, s2, v7, 0
	v_add_nc_u32_e32 v15, 0x1f4, v22
	v_add_co_u32 v30, s0, s12, v20
	v_add_co_ci_u32_e64 v32, s0, s13, v21, s0
	v_add_nc_u32_e32 v19, 0x2ee, v22
	v_mad_u64_u32 v[4:5], null, s3, v22, v[1:2]
	v_mov_b32_e32 v1, v3
	v_mad_u64_u32 v[5:6], null, s2, v10, 0
	v_add_nc_u32_e32 v25, 0x36b, v22
	v_add_nc_u32_e32 v27, 0x465, v22
	v_mad_u64_u32 v[7:8], null, s3, v7, v[1:2]
	v_mov_b32_e32 v1, v4
	v_mad_u64_u32 v[17:18], null, s2, v25, 0
	v_mov_b32_e32 v4, v6
	v_add_nc_u32_e32 v28, 0x4e2, v22
	v_lshlrev_b64 v[0:1], 2, v[0:1]
	v_mov_b32_e32 v3, v7
	v_mad_u64_u32 v[7:8], null, s2, v13, 0
	v_mad_u64_u32 v[10:11], null, s3, v10, v[4:5]
	;; [unrolled: 1-line block ×3, first 2 shown]
	v_lshlrev_b64 v[2:3], 2, v[2:3]
	v_add_co_u32 v0, s0, v30, v0
	v_mov_b32_e32 v4, v8
	v_mov_b32_e32 v6, v10
	v_add_nc_u32_e32 v10, 0x271, v22
	v_add_co_ci_u32_e64 v1, s0, v32, v1, s0
	v_mad_u64_u32 v[13:14], null, s3, v13, v[4:5]
	v_lshlrev_b64 v[5:6], 2, v[5:6]
	v_mov_b32_e32 v4, v12
	v_add_co_u32 v2, s0, v30, v2
	v_add_co_ci_u32_e64 v3, s0, v32, v3, s0
	v_mov_b32_e32 v8, v13
	v_mad_u64_u32 v[12:13], null, s3, v15, v[4:5]
	v_mad_u64_u32 v[13:14], null, s2, v10, 0
	;; [unrolled: 1-line block ×3, first 2 shown]
	v_add_co_u32 v4, s0, v30, v5
	v_add_co_ci_u32_e64 v5, s0, v32, v6, s0
	v_lshlrev_b64 v[6:7], 2, v[7:8]
	v_mov_b32_e32 v8, v14
	v_add_nc_u32_e32 v31, 0x5dc, v22
                                        ; implicit-def: $vgpr46
                                        ; implicit-def: $vgpr48
                                        ; implicit-def: $vgpr55
                                        ; implicit-def: $vgpr58
                                        ; implicit-def: $vgpr65
                                        ; implicit-def: $vgpr37
                                        ; implicit-def: $vgpr57
                                        ; implicit-def: $vgpr59
                                        ; implicit-def: $vgpr64
                                        ; implicit-def: $vgpr66
	v_mad_u64_u32 v[23:24], null, s3, v10, v[8:9]
	v_mov_b32_e32 v8, v16
	v_lshlrev_b64 v[10:11], 2, v[11:12]
	v_mov_b32_e32 v12, v18
	v_add_co_u32 v6, s0, v30, v6
	v_mad_u64_u32 v[18:19], null, s3, v19, v[8:9]
	v_mov_b32_e32 v14, v23
	v_mad_u64_u32 v[23:24], null, s3, v25, v[12:13]
	v_add_co_ci_u32_e64 v7, s0, v32, v7, s0
	v_lshlrev_b64 v[12:13], 2, v[13:14]
	v_mov_b32_e32 v16, v18
	v_add_co_u32 v10, s0, v30, v10
	v_mov_b32_e32 v18, v23
	v_add_co_ci_u32_e64 v11, s0, v32, v11, s0
	v_lshlrev_b64 v[14:15], 2, v[15:16]
	v_add_co_u32 v12, s0, v30, v12
	v_lshlrev_b64 v[16:17], 2, v[17:18]
	v_add_co_ci_u32_e64 v13, s0, v32, v13, s0
	v_add_co_u32 v14, s0, v30, v14
	v_add_co_ci_u32_e64 v15, s0, v32, v15, s0
	v_add_co_u32 v16, s0, v30, v16
	v_add_co_ci_u32_e64 v17, s0, v32, v17, s0
	s_clause 0x7
	global_load_dword v29, v[0:1], off
	global_load_dword v1, v[2:3], off
	;; [unrolled: 1-line block ×8, first 2 shown]
	v_add_nc_u32_e32 v25, 0x3e8, v22
	v_mad_u64_u32 v[18:19], null, s2, v27, 0
	v_mad_u64_u32 v[35:36], null, s2, v31, 0
	;; [unrolled: 1-line block ×3, first 2 shown]
	v_mov_b32_e32 v8, v24
	v_mad_u64_u32 v[24:25], null, s3, v25, v[8:9]
	v_mad_u64_u32 v[25:26], null, s2, v28, 0
	v_mov_b32_e32 v8, v19
	v_lshlrev_b64 v[10:11], 2, v[23:24]
	v_mov_b32_e32 v19, v26
	v_mad_u64_u32 v[26:27], null, s3, v27, v[8:9]
	v_add_nc_u32_e32 v8, 0x55f, v22
	v_add_co_u32 v10, s0, v30, v10
	v_mad_u64_u32 v[27:28], null, s3, v28, v[19:20]
	v_mad_u64_u32 v[33:34], null, s2, v8, 0
	v_mov_b32_e32 v19, v26
	v_add_co_ci_u32_e64 v11, s0, v32, v11, s0
	v_mov_b32_e32 v26, v27
	v_mov_b32_e32 v0, v34
	s_waitcnt vmcnt(6)
	v_mad_u64_u32 v[12:13], null, s3, v8, v[0:1]
	v_mov_b32_e32 v0, v36
	v_lshlrev_b64 v[13:14], 2, v[18:19]
                                        ; implicit-def: $vgpr8
	v_mad_u64_u32 v[15:16], null, s3, v31, v[0:1]
	v_mov_b32_e32 v34, v12
	v_lshlrev_b64 v[16:17], 2, v[25:26]
	v_add_co_u32 v12, s0, v30, v13
	v_add_co_ci_u32_e64 v13, s0, v32, v14, s0
	v_mov_b32_e32 v36, v15
	v_lshlrev_b64 v[18:19], 2, v[33:34]
	v_add_co_u32 v16, s0, v30, v16
	v_add_co_ci_u32_e64 v17, s0, v32, v17, s0
	v_lshlrev_b64 v[14:15], 2, v[35:36]
	v_add_co_u32 v24, s0, v30, v18
	v_add_co_ci_u32_e64 v25, s0, v32, v19, s0
	v_mov_b32_e32 v31, 0
	v_add_co_u32 v33, s0, v30, v14
	v_add_co_ci_u32_e64 v34, s0, v32, v15, s0
	s_clause 0x4
	global_load_dword v15, v[10:11], off
	global_load_dword v19, v[12:13], off
	;; [unrolled: 1-line block ×5, first 2 shown]
	v_cmp_gt_u32_e64 s0, 60, v22
	v_mov_b32_e32 v0, 0
                                        ; implicit-def: $vgpr18
                                        ; implicit-def: $vgpr14
                                        ; implicit-def: $vgpr13
                                        ; implicit-def: $vgpr12
                                        ; implicit-def: $vgpr11
                                        ; implicit-def: $vgpr10
                                        ; implicit-def: $vgpr16
                                        ; implicit-def: $vgpr24
                                        ; implicit-def: $vgpr17
                                        ; implicit-def: $vgpr25
                                        ; implicit-def: $vgpr26
                                        ; implicit-def: $vgpr35
                                        ; implicit-def: $vgpr36
	s_and_saveexec_b32 s4, s0
	s_cbranch_execz .LBB0_12
; %bb.11:
	v_add_nc_u32_e32 v14, 0x41, v22
	v_add_nc_u32_e32 v18, 0xbe, v22
	v_add_nc_u32_e32 v26, 0x13b, v22
	v_add_nc_u32_e32 v31, 0x1b8, v22
	v_mad_u64_u32 v[10:11], null, s2, v14, 0
	v_mad_u64_u32 v[12:13], null, s2, v18, 0
	;; [unrolled: 1-line block ×4, first 2 shown]
	v_mov_b32_e32 v0, v11
	v_mov_b32_e32 v8, v13
	v_mad_u64_u32 v[13:14], null, s3, v14, v[0:1]
	v_mov_b32_e32 v0, v17
	v_mad_u64_u32 v[17:18], null, s3, v18, v[8:9]
	v_add_nc_u32_e32 v8, 0x235, v22
	v_add_nc_u32_e32 v14, 0x2b2, v22
	v_mad_u64_u32 v[33:34], null, s3, v26, v[0:1]
	v_mov_b32_e32 v0, v25
	v_mad_u64_u32 v[34:35], null, s2, v8, 0
	v_add_nc_u32_e32 v18, 0x32f, v22
	v_mov_b32_e32 v11, v13
	v_mad_u64_u32 v[25:26], null, s3, v31, v[0:1]
	v_add_nc_u32_e32 v26, 0x3ac, v22
	v_mad_u64_u32 v[38:39], null, s2, v18, 0
	v_mov_b32_e32 v0, v35
	v_mov_b32_e32 v13, v17
	v_mad_u64_u32 v[40:41], null, s2, v26, 0
	v_lshlrev_b64 v[10:11], 2, v[10:11]
	v_mad_u64_u32 v[35:36], null, s3, v8, v[0:1]
	v_mad_u64_u32 v[36:37], null, s2, v14, 0
	v_mov_b32_e32 v17, v33
	v_mov_b32_e32 v8, v41
	v_lshlrev_b64 v[12:13], 2, v[12:13]
	v_add_co_u32 v10, s0, v30, v10
	v_lshlrev_b64 v[16:17], 2, v[16:17]
	v_mov_b32_e32 v0, v37
	v_add_co_ci_u32_e64 v11, s0, v32, v11, s0
	v_add_co_u32 v12, s0, v30, v12
	v_mad_u64_u32 v[42:43], null, s3, v14, v[0:1]
	v_mov_b32_e32 v0, v39
	v_lshlrev_b64 v[24:25], 2, v[24:25]
	v_add_co_ci_u32_e64 v13, s0, v32, v13, s0
	v_add_co_u32 v16, s0, v30, v16
	v_mov_b32_e32 v37, v42
	v_mad_u64_u32 v[41:42], null, s3, v18, v[0:1]
	v_mad_u64_u32 v[42:43], null, s3, v26, v[8:9]
	v_add_nc_u32_e32 v8, 0x429, v22
	v_lshlrev_b64 v[33:34], 2, v[34:35]
	v_add_co_ci_u32_e64 v17, s0, v32, v17, s0
	v_mov_b32_e32 v39, v41
	v_add_co_u32 v24, s0, v30, v24
	v_mov_b32_e32 v41, v42
	v_mad_u64_u32 v[42:43], null, s2, v8, 0
	v_lshlrev_b64 v[35:36], 2, v[36:37]
	v_add_co_ci_u32_e64 v25, s0, v32, v25, s0
	v_add_co_u32 v33, s0, v30, v33
	v_add_nc_u32_e32 v14, 0x4a6, v22
	v_add_co_ci_u32_e64 v34, s0, v32, v34, s0
	v_add_co_u32 v44, s0, v30, v35
	v_mov_b32_e32 v0, v43
	v_add_nc_u32_e32 v18, 0x523, v22
	v_add_co_ci_u32_e64 v45, s0, v32, v36, s0
	v_lshlrev_b64 v[35:36], 2, v[38:39]
	v_lshlrev_b64 v[37:38], 2, v[40:41]
	v_mad_u64_u32 v[39:40], null, s2, v14, 0
	v_mad_u64_u32 v[46:47], null, s3, v8, v[0:1]
	;; [unrolled: 1-line block ×3, first 2 shown]
	v_add_co_u32 v49, s0, v30, v35
	v_mov_b32_e32 v0, v40
	v_add_co_ci_u32_e64 v50, s0, v32, v36, s0
	v_add_co_u32 v37, s0, v30, v37
	v_mov_b32_e32 v8, v48
	v_mad_u64_u32 v[40:41], null, s3, v14, v[0:1]
	v_add_nc_u32_e32 v14, 0x5a0, v22
	v_add_nc_u32_e32 v41, 0x61d, v22
	v_mad_u64_u32 v[51:52], null, s3, v18, v[8:9]
	v_mov_b32_e32 v43, v46
	v_mad_u64_u32 v[52:53], null, s2, v14, 0
	v_mad_u64_u32 v[54:55], null, s2, v41, 0
	v_add_co_ci_u32_e64 v38, s0, v32, v38, s0
	s_clause 0x7
	global_load_dword v31, v[10:11], off
	global_load_dword v36, v[12:13], off
	;; [unrolled: 1-line block ×8, first 2 shown]
	v_lshlrev_b64 v[10:11], 2, v[42:43]
	v_mov_b32_e32 v0, v53
	v_mov_b32_e32 v48, v51
	v_mad_u64_u32 v[12:13], null, s3, v14, v[0:1]
	v_mov_b32_e32 v0, v55
	v_lshlrev_b64 v[13:14], 2, v[39:40]
	v_add_co_u32 v10, s0, v30, v10
	v_lshlrev_b64 v[37:38], 2, v[47:48]
	v_mad_u64_u32 v[33:34], null, s3, v41, v[0:1]
	v_mov_b32_e32 v53, v12
	v_add_co_ci_u32_e64 v11, s0, v32, v11, s0
	v_add_co_u32 v12, s0, v30, v13
	v_add_co_ci_u32_e64 v13, s0, v32, v14, s0
	v_mov_b32_e32 v55, v33
	v_lshlrev_b64 v[39:40], 2, v[52:53]
	v_add_co_u32 v33, s0, v30, v37
	v_add_co_ci_u32_e64 v34, s0, v32, v38, s0
	v_lshlrev_b64 v[37:38], 2, v[54:55]
	v_add_co_u32 v39, s0, v30, v39
	v_add_co_ci_u32_e64 v40, s0, v32, v40, s0
	v_add_co_u32 v37, s0, v30, v37
	v_add_co_ci_u32_e64 v38, s0, v32, v38, s0
	s_clause 0x4
	global_load_dword v46, v[10:11], off
	global_load_dword v48, v[12:13], off
	;; [unrolled: 1-line block ×5, first 2 shown]
	s_waitcnt vmcnt(12)
	v_lshrrev_b32_e32 v0, 16, v31
	s_waitcnt vmcnt(11)
	v_lshrrev_b32_e32 v66, 16, v36
	;; [unrolled: 2-line block ×13, first 2 shown]
.LBB0_12:
	s_or_b32 exec_lo, exec_lo, s4
	v_lshrrev_b32_e32 v30, 16, v29
	v_lshrrev_b32_e32 v44, 16, v1
	s_waitcnt vmcnt(10)
	v_lshrrev_b32_e32 v45, 16, v2
	s_waitcnt vmcnt(9)
	;; [unrolled: 2-line block ×11, first 2 shown]
	v_lshrrev_b32_e32 v33, 16, v28
.LBB0_13:
	s_or_b32 exec_lo, exec_lo, s1
	v_add_f16_e32 v49, v29, v1
	v_and_b32_e32 v50, 1, v9
	v_add_f16_e32 v51, v28, v1
	v_sub_f16_e32 v52, v44, v33
	v_add_f16_e32 v53, v27, v2
	v_add_f16_e32 v9, v49, v2
	v_cmp_eq_u32_e64 s0, 1, v50
	v_pk_mul_f16 v71, 0x388b3b15, v51 op_sel_hi:[1,0]
	v_sub_f16_e32 v54, v45, v34
	v_add_f16_e32 v56, v23, v3
	v_add_f16_e32 v9, v9, v3
	v_pk_mul_f16 v72, 0xb5ac388b, v53 op_sel_hi:[1,0]
	v_sub_f16_e32 v60, v43, v38
	v_add_f16_e32 v61, v19, v4
	v_pk_mul_f16 v73, 0xbbc42fb7, v56 op_sel_hi:[1,0]
	v_add_f16_e32 v67, v9, v4
	v_pk_mul_f16 v76, 0xb5ac2fb7, v51 op_sel_hi:[1,0]
	v_pk_fma_f16 v80, 0xbb7bba95, v54, v72 op_sel_hi:[1,0,1] neg_lo:[0,1,0] neg_hi:[0,1,0]
	v_sub_f16_e32 v62, v42, v40
	v_add_f16_e32 v63, v15, v5
	v_add_f16_e32 v50, v67, v5
	v_pk_fma_f16 v67, 0xba95b770, v52, v71 op_sel_hi:[1,0,1] neg_lo:[0,1,0] neg_hi:[0,1,0]
	v_pk_mul_f16 v74, 0xb9fdb5ac, v61 op_sel_hi:[1,0]
	v_pk_mul_f16 v77, 0xb9fdbbc4, v53 op_sel_hi:[1,0]
	;; [unrolled: 1-line block ×3, first 2 shown]
	v_add_f16_e32 v50, v50, v6
	v_pk_add_f16 v67, v67, v29 op_sel_hi:[1,0]
	v_pk_fma_f16 v81, 0xb3a8bbf1, v60, v73 op_sel_hi:[1,0,1] neg_lo:[0,1,0] neg_hi:[0,1,0]
	v_pk_fma_f16 v83, 0xbb7bbbf1, v52, v76 op_sel_hi:[1,0,1] neg_lo:[0,1,0] neg_hi:[0,1,0]
	v_sub_f16_e32 v68, v39, v41
	v_add_f16_e32 v50, v50, v7
	v_pk_add_f16 v67, v67, v80
	v_pk_mul_f16 v75, 0x2fb7b9fd, v63 op_sel_hi:[1,0]
	v_pk_mul_f16 v78, 0x3b15b5ac, v56 op_sel_hi:[1,0]
	;; [unrolled: 1-line block ×3, first 2 shown]
	v_add_f16_e32 v50, v15, v50
	v_pk_fma_f16 v80, 0x394ebb7b, v62, v74 op_sel_hi:[1,0,1] neg_lo:[0,1,0] neg_hi:[0,1,0]
	v_pk_add_f16 v67, v67, v81
	v_pk_fma_f16 v81, 0x394eb3a8, v54, v77 op_sel_hi:[1,0,1] neg_lo:[0,1,0] neg_hi:[0,1,0]
	v_pk_fma_f16 v84, 0xb3a8b94e, v52, v51 op_sel_hi:[1,0,1] neg_lo:[0,1,0] neg_hi:[0,1,0]
	v_add_f16_e32 v50, v19, v50
	v_pk_add_f16 v83, v83, v29 op_sel_hi:[1,0]
	v_pk_fma_f16 v51, 0xb3a8b94e, v52, v51 op_sel_hi:[1,0,1]
	v_pk_fma_f16 v76, 0xbb7bbbf1, v52, v76 op_sel_hi:[1,0,1]
	v_pk_fma_f16 v52, 0xba95b770, v52, v71 op_sel_hi:[1,0,1]
	v_add_f16_e32 v50, v23, v50
	v_pk_mul_f16 v79, 0x2fb73b15, v61 op_sel_hi:[1,0]
	v_pk_fma_f16 v82, 0x3bf1b94e, v68, v75 op_sel_hi:[1,0,1] neg_lo:[0,1,0] neg_hi:[0,1,0]
	v_pk_add_f16 v67, v67, v80
	v_pk_fma_f16 v80, 0x37703b7b, v60, v78 op_sel_hi:[1,0,1] neg_lo:[0,1,0] neg_hi:[0,1,0]
	v_add_f16_e32 v50, v27, v50
	v_pk_add_f16 v81, v83, v81
	v_pk_mul_f16 v56, 0xb9fd388b, v56 op_sel_hi:[1,0]
	v_pk_add_f16 v51, v51, v29 op_sel_hi:[1,0]
	v_pk_add_f16 v84, v84, v29 op_sel_hi:[1,0]
	v_add_f16_e32 v83, v28, v50
	v_pk_fma_f16 v50, 0x37703bf1, v54, v53 op_sel_hi:[1,0,1] neg_lo:[0,1,0] neg_hi:[0,1,0]
	v_pk_fma_f16 v53, 0x37703bf1, v54, v53 op_sel_hi:[1,0,1]
	v_pk_add_f16 v76, v76, v29 op_sel_hi:[1,0]
	v_pk_add_f16 v29, v52, v29 op_sel_hi:[1,0]
	v_pk_fma_f16 v77, 0x394eb3a8, v54, v77 op_sel_hi:[1,0,1]
	v_pk_fma_f16 v54, 0xbb7bba95, v54, v72 op_sel_hi:[1,0,1]
	v_pk_add_f16 v82, v67, v82
	v_pk_add_f16 v67, v81, v80
	v_pk_fma_f16 v80, 0xbbf13770, v62, v79 op_sel_hi:[1,0,1] neg_lo:[0,1,0] neg_hi:[0,1,0]
	v_pk_mul_f16 v81, 0xbbc4388b, v63 op_sel_hi:[1,0]
	v_pk_mul_f16 v61, 0x388bbbc4, v61 op_sel_hi:[1,0]
	v_pk_add_f16 v51, v51, v53
	v_pk_fma_f16 v53, 0xb94eba95, v60, v56 op_sel_hi:[1,0,1]
	v_pk_add_f16 v50, v84, v50
	v_pk_fma_f16 v84, 0xb94eba95, v60, v56 op_sel_hi:[1,0,1] neg_lo:[0,1,0] neg_hi:[0,1,0]
	v_pk_add_f16 v56, v76, v77
	v_pk_fma_f16 v72, 0x37703b7b, v60, v78 op_sel_hi:[1,0,1]
	v_pk_add_f16 v29, v29, v54
	v_pk_fma_f16 v54, 0xb3a8bbf1, v60, v73 op_sel_hi:[1,0,1]
	v_add_f16_e32 v69, v7, v6
	v_pk_add_f16 v80, v67, v80
	v_pk_fma_f16 v86, 0x33a8ba95, v68, v81 op_sel_hi:[1,0,1] neg_lo:[0,1,0] neg_hi:[0,1,0]
	v_pk_mul_f16 v63, 0xb5ac3b15, v63 op_sel_hi:[1,0]
	v_pk_add_f16 v51, v51, v53
	v_pk_fma_f16 v53, 0x3a9533a8, v62, v61 op_sel_hi:[1,0,1]
	v_pk_add_f16 v56, v56, v72
	v_pk_fma_f16 v60, 0xbbf13770, v62, v79 op_sel_hi:[1,0,1]
	v_pk_add_f16 v29, v29, v54
	v_pk_fma_f16 v54, 0x394ebb7b, v62, v74 op_sel_hi:[1,0,1]
	v_sub_f16_e32 v70, v32, v47
	v_pk_mul_f16 v85, 0x3b15bbc4, v69 op_sel_hi:[1,0]
	v_pk_add_f16 v50, v50, v84
	v_pk_fma_f16 v84, 0x3a9533a8, v62, v61 op_sel_hi:[1,0,1] neg_lo:[0,1,0] neg_hi:[0,1,0]
	v_pk_add_f16 v80, v80, v86
	v_pk_mul_f16 v86, 0x388bb9fd, v69 op_sel_hi:[1,0]
	v_pk_mul_f16 v69, 0x2fb7b5ac, v69 op_sel_hi:[1,0]
	v_pk_add_f16 v51, v51, v53
	v_pk_fma_f16 v53, 0xbb7b3770, v68, v63 op_sel_hi:[1,0,1]
	v_pk_add_f16 v56, v56, v60
	v_pk_fma_f16 v60, 0x33a8ba95, v68, v81 op_sel_hi:[1,0,1]
	;; [unrolled: 2-line block ×3, first 2 shown]
	v_pk_add_f16 v84, v50, v84
	v_pk_fma_f16 v52, 0xbb7b3770, v68, v63 op_sel_hi:[1,0,1] neg_lo:[0,1,0] neg_hi:[0,1,0]
	v_pk_add_f16 v51, v51, v53
	v_pk_fma_f16 v53, 0x3bf1bb7b, v70, v69 op_sel_hi:[1,0,1]
	v_pk_add_f16 v56, v56, v60
	v_pk_fma_f16 v60, 0x3a95b94e, v70, v86 op_sel_hi:[1,0,1]
	;; [unrolled: 2-line block ×3, first 2 shown]
	v_mad_u32_u24 v9, v22, 26, 0
	v_cndmask_b32_e64 v49, 0, 0x659, s0
	v_pk_fma_f16 v87, 0x3770b3a8, v70, v85 op_sel_hi:[1,0,1] neg_lo:[0,1,0] neg_hi:[0,1,0]
	v_pk_fma_f16 v71, 0x3a95b94e, v70, v86 op_sel_hi:[1,0,1] neg_lo:[0,1,0] neg_hi:[0,1,0]
	v_pk_add_f16 v52, v84, v52
	v_pk_fma_f16 v61, 0x3bf1bb7b, v70, v69 op_sel_hi:[1,0,1] neg_lo:[0,1,0] neg_hi:[0,1,0]
	v_pk_add_f16 v53, v51, v53
	v_pk_add_f16 v56, v56, v60
	v_pk_add_f16 v29, v29, v54
	v_lshl_add_u32 v67, v49, 1, v9
	v_cmp_gt_u32_e64 s0, 60, v22
	v_pk_add_f16 v50, v82, v87
	v_pk_add_f16 v51, v80, v71
	;; [unrolled: 1-line block ×3, first 2 shown]
	v_alignbit_b32 v53, v53, v53, 16
	v_alignbit_b32 v60, v56, v56, 16
	;; [unrolled: 1-line block ×3, first 2 shown]
	ds_write_b16 v67, v83
	ds_write_b128 v67, v[50:53] offset:2
	ds_write_b64 v67, v[60:61] offset:18
	s_and_saveexec_b32 s1, s0
	s_cbranch_execz .LBB0_15
; %bb.14:
	v_add_f16_e32 v50, v36, v65
	v_sub_f16_e32 v51, v66, v8
	v_add_f16_e32 v52, v35, v58
	v_add_f16_e32 v29, v31, v36
	v_sub_f16_e32 v53, v64, v10
	v_pk_mul_f16 v70, 0x388b3b15, v50 op_sel_hi:[1,0]
	v_add_f16_e32 v54, v26, v55
	v_pk_mul_f16 v71, 0xb5ac388b, v52 op_sel_hi:[1,0]
	v_add_f16_e32 v29, v29, v35
	v_sub_f16_e32 v56, v59, v11
	v_pk_fma_f16 v81, 0xba95b770, v51, v70 op_sel_hi:[1,0,1] neg_lo:[0,1,0] neg_hi:[0,1,0]
	v_add_f16_e32 v60, v25, v48
	v_pk_mul_f16 v72, 0xbbc42fb7, v54 op_sel_hi:[1,0]
	v_pk_mul_f16 v76, 0xb5ac2fb7, v50 op_sel_hi:[1,0]
	;; [unrolled: 1-line block ×3, first 2 shown]
	v_pk_fma_f16 v50, 0xbb7bba95, v53, v71 op_sel_hi:[1,0,1] neg_lo:[0,1,0] neg_hi:[0,1,0]
	v_pk_add_f16 v81, v31, v81 op_sel_hi:[0,1]
	v_add_f16_e32 v29, v29, v26
	v_sub_f16_e32 v61, v57, v12
	v_add_f16_e32 v62, v17, v46
	v_pk_mul_f16 v73, 0xb9fdb5ac, v60 op_sel_hi:[1,0]
	v_pk_fma_f16 v83, 0xb3a8bbf1, v56, v72 op_sel_hi:[1,0,1] neg_lo:[0,1,0] neg_hi:[0,1,0]
	v_pk_add_f16 v50, v81, v50
	v_add_f16_e32 v29, v29, v25
	v_sub_f16_e32 v63, v37, v13
	v_pk_mul_f16 v74, 0x2fb7b9fd, v62 op_sel_hi:[1,0]
	v_pk_mul_f16 v77, 0xb9fdbbc4, v52 op_sel_hi:[1,0]
	v_pk_fma_f16 v84, 0x394ebb7b, v61, v73 op_sel_hi:[1,0,1] neg_lo:[0,1,0] neg_hi:[0,1,0]
	v_pk_fma_f16 v85, 0xbb7bbbf1, v51, v76 op_sel_hi:[1,0,1] neg_lo:[0,1,0] neg_hi:[0,1,0]
	v_pk_add_f16 v50, v50, v83
	v_add_f16_e32 v29, v29, v17
	v_pk_mul_f16 v78, 0x3b15b5ac, v54 op_sel_hi:[1,0]
	v_pk_mul_f16 v52, 0x3b152fb7, v52 op_sel_hi:[1,0]
	v_pk_fma_f16 v81, 0x3bf1b94e, v63, v74 op_sel_hi:[1,0,1] neg_lo:[0,1,0] neg_hi:[0,1,0]
	v_pk_fma_f16 v86, 0x394eb3a8, v53, v77 op_sel_hi:[1,0,1] neg_lo:[0,1,0] neg_hi:[0,1,0]
	v_pk_add_f16 v85, v31, v85 op_sel_hi:[0,1]
	v_pk_fma_f16 v87, 0xb3a8b94e, v51, v82 op_sel_hi:[1,0,1] neg_lo:[0,1,0] neg_hi:[0,1,0]
	v_pk_add_f16 v50, v50, v84
	v_pk_fma_f16 v82, 0xb3a8b94e, v51, v82 op_sel_hi:[1,0,1]
	v_pk_fma_f16 v76, 0xbb7bbbf1, v51, v76 op_sel_hi:[1,0,1]
	;; [unrolled: 1-line block ×3, first 2 shown]
	v_add_f16_e32 v29, v29, v16
	v_pk_mul_f16 v79, 0x2fb73b15, v60 op_sel_hi:[1,0]
	v_pk_fma_f16 v83, 0x37703b7b, v56, v78 op_sel_hi:[1,0,1] neg_lo:[0,1,0] neg_hi:[0,1,0]
	v_pk_add_f16 v85, v85, v86
	v_pk_add_f16 v50, v50, v81
	v_pk_fma_f16 v81, 0x37703bf1, v53, v52 op_sel_hi:[1,0,1] neg_lo:[0,1,0] neg_hi:[0,1,0]
	v_pk_mul_f16 v54, 0xb9fd388b, v54 op_sel_hi:[1,0]
	v_pk_add_f16 v70, v31, v82 op_sel_hi:[0,1]
	v_pk_fma_f16 v52, 0x37703bf1, v53, v52 op_sel_hi:[1,0,1]
	v_pk_add_f16 v86, v31, v87 op_sel_hi:[0,1]
	v_pk_add_f16 v76, v31, v76 op_sel_hi:[0,1]
	v_pk_fma_f16 v77, 0x394eb3a8, v53, v77 op_sel_hi:[1,0,1]
	v_pk_add_f16 v31, v31, v51 op_sel_hi:[0,1]
	v_pk_fma_f16 v51, 0xbb7bba95, v53, v71 op_sel_hi:[1,0,1]
	v_add_f16_e32 v29, v29, v18
	v_pk_mul_f16 v80, 0xbbc4388b, v62 op_sel_hi:[1,0]
	v_pk_fma_f16 v84, 0xbbf13770, v61, v79 op_sel_hi:[1,0,1] neg_lo:[0,1,0] neg_hi:[0,1,0]
	v_pk_add_f16 v83, v85, v83
	v_pk_mul_f16 v60, 0x388bbbc4, v60 op_sel_hi:[1,0]
	v_pk_add_f16 v52, v70, v52
	v_pk_fma_f16 v53, 0xb94eba95, v56, v54 op_sel_hi:[1,0,1]
	v_pk_add_f16 v81, v86, v81
	v_pk_fma_f16 v86, 0xb94eba95, v56, v54 op_sel_hi:[1,0,1] neg_lo:[0,1,0] neg_hi:[0,1,0]
	v_pk_add_f16 v54, v76, v77
	v_pk_fma_f16 v70, 0x37703b7b, v56, v78 op_sel_hi:[1,0,1]
	v_pk_add_f16 v31, v31, v51
	v_pk_fma_f16 v51, 0xb3a8bbf1, v56, v72 op_sel_hi:[1,0,1]
	v_add_f16_e32 v29, v46, v29
	v_add_f16_e32 v68, v16, v18
	v_pk_add_f16 v83, v83, v84
	v_pk_fma_f16 v84, 0x33a8ba95, v63, v80 op_sel_hi:[1,0,1] neg_lo:[0,1,0] neg_hi:[0,1,0]
	v_pk_mul_f16 v62, 0xb5ac3b15, v62 op_sel_hi:[1,0]
	v_pk_add_f16 v52, v52, v53
	v_pk_fma_f16 v53, 0x3a9533a8, v61, v60 op_sel_hi:[1,0,1]
	v_pk_add_f16 v54, v54, v70
	v_pk_fma_f16 v56, 0xbbf13770, v61, v79 op_sel_hi:[1,0,1]
	;; [unrolled: 2-line block ×3, first 2 shown]
	v_add_f16_e32 v29, v48, v29
	v_sub_f16_e32 v69, v24, v14
	v_pk_mul_f16 v75, 0x3b15bbc4, v68 op_sel_hi:[1,0]
	v_pk_mul_f16 v87, 0x388bb9fd, v68 op_sel_hi:[1,0]
	v_pk_add_f16 v83, v83, v84
	v_pk_add_f16 v81, v81, v86
	v_pk_fma_f16 v84, 0x3a9533a8, v61, v60 op_sel_hi:[1,0,1] neg_lo:[0,1,0] neg_hi:[0,1,0]
	v_pk_mul_f16 v68, 0x2fb7b5ac, v68 op_sel_hi:[1,0]
	v_pk_add_f16 v52, v52, v53
	v_pk_fma_f16 v53, 0xbb7b3770, v63, v62 op_sel_hi:[1,0,1]
	v_pk_add_f16 v54, v54, v56
	v_pk_fma_f16 v56, 0x33a8ba95, v63, v80 op_sel_hi:[1,0,1]
	;; [unrolled: 2-line block ×3, first 2 shown]
	v_add_f16_e32 v29, v55, v29
	v_pk_fma_f16 v85, 0x3770b3a8, v69, v75 op_sel_hi:[1,0,1] neg_lo:[0,1,0] neg_hi:[0,1,0]
	v_pk_add_f16 v81, v81, v84
	v_pk_fma_f16 v84, 0xbb7b3770, v63, v62 op_sel_hi:[1,0,1] neg_lo:[0,1,0] neg_hi:[0,1,0]
	v_pk_add_f16 v52, v52, v53
	v_pk_fma_f16 v53, 0x3bf1bb7b, v69, v68 op_sel_hi:[1,0,1]
	v_pk_add_f16 v54, v54, v56
	v_pk_fma_f16 v56, 0x3a95b94e, v69, v87 op_sel_hi:[1,0,1]
	;; [unrolled: 2-line block ×3, first 2 shown]
	v_add_f16_e32 v29, v58, v29
	v_pk_add_f16 v50, v50, v85
	v_pk_fma_f16 v85, 0x3a95b94e, v69, v87 op_sel_hi:[1,0,1] neg_lo:[0,1,0] neg_hi:[0,1,0]
	v_pk_add_f16 v60, v81, v84
	v_pk_fma_f16 v61, 0x3bf1bb7b, v69, v68 op_sel_hi:[1,0,1] neg_lo:[0,1,0] neg_hi:[0,1,0]
	v_pk_add_f16 v53, v52, v53
	v_pk_add_f16 v54, v54, v56
	;; [unrolled: 1-line block ×3, first 2 shown]
	v_add_f16_e32 v29, v65, v29
	v_pk_add_f16 v51, v83, v85
	v_pk_add_f16 v52, v60, v61
	v_alignbit_b32 v53, v53, v53, 16
	v_alignbit_b32 v60, v54, v54, 16
	;; [unrolled: 1-line block ×3, first 2 shown]
	ds_write_b16 v67, v29 offset:1690
	ds_write_b128 v67, v[50:53] offset:1692
	ds_write_b64 v67, v[60:61] offset:1708
.LBB0_15:
	s_or_b32 exec_lo, exec_lo, s1
	v_add_f16_e32 v29, v30, v44
	v_sub_f16_e32 v28, v1, v28
	v_add_f16_e32 v31, v33, v44
	v_sub_f16_e32 v2, v2, v27
	v_sub_f16_e32 v6, v6, v7
	v_add_f16_e32 v1, v29, v45
	v_pk_mul_f16 v7, 0xba95b770, v28 op_sel_hi:[1,0]
	v_add_f16_e32 v44, v34, v45
	v_sub_f16_e32 v3, v3, v23
	v_pk_mul_f16 v29, 0xbb7bba95, v2 op_sel_hi:[1,0]
	v_add_f16_e32 v1, v1, v43
	v_pk_fma_f16 v51, 0x388b3b15, v31, v7 op_sel_hi:[1,0,1]
	v_add_f16_e32 v27, v38, v43
	v_add_f16_e32 v23, v40, v42
	v_sub_f16_e32 v4, v4, v19
	v_add_f16_e32 v1, v1, v42
	v_pk_mul_f16 v42, 0xb3a8bbf1, v3 op_sel_hi:[1,0]
	v_pk_fma_f16 v53, 0xb5ac388b, v44, v29 op_sel_hi:[1,0,1]
	v_pk_add_f16 v51, v51, v30 op_sel_hi:[1,0]
	v_sub_f16_e32 v5, v5, v15
	v_add_f16_e32 v1, v1, v39
	v_add_f16_e32 v15, v47, v32
	v_pk_mul_f16 v43, 0x394ebb7b, v4 op_sel_hi:[1,0]
	v_pk_add_f16 v51, v51, v53
	v_add_f16_e32 v19, v41, v39
	v_add_f16_e32 v1, v1, v32
	v_pk_mul_f16 v39, 0x3bf1b94e, v5 op_sel_hi:[1,0]
	v_pk_mul_f16 v50, 0xbb7bbbf1, v28 op_sel_hi:[1,0]
	v_pk_fma_f16 v54, 0xb9fdb5ac, v23, v43 op_sel_hi:[1,0,1]
	v_pk_fma_f16 v7, 0x388b3b15, v31, v7 op_sel_hi:[1,0,1] neg_lo:[0,0,1] neg_hi:[0,0,1]
	v_add_f16_e32 v1, v1, v47
	v_pk_fma_f16 v47, 0xbbc42fb7, v27, v42 op_sel_hi:[1,0,1]
	v_pk_mul_f16 v45, 0x3770b3a8, v6 op_sel_hi:[1,0]
	v_pk_mul_f16 v32, 0x394eb3a8, v2 op_sel_hi:[1,0]
	v_pk_fma_f16 v56, 0x2fb7b9fd, v19, v39 op_sel_hi:[1,0,1]
	v_add_f16_e32 v1, v41, v1
	v_pk_add_f16 v47, v51, v47
	v_pk_fma_f16 v29, 0xb5ac388b, v44, v29 op_sel_hi:[1,0,1] neg_lo:[0,0,1] neg_hi:[0,0,1]
	v_pk_add_f16 v7, v7, v30 op_sel_hi:[1,0]
	v_pk_mul_f16 v52, 0x37703b7b, v3 op_sel_hi:[1,0]
	v_add_f16_e32 v1, v40, v1
	v_pk_fma_f16 v40, 0xbbc42fb7, v27, v42 op_sel_hi:[1,0,1] neg_lo:[0,0,1] neg_hi:[0,0,1]
	v_pk_fma_f16 v42, 0xb5ac2fb7, v31, v50 op_sel_hi:[1,0,1]
	v_pk_add_f16 v47, v47, v54
	v_pk_fma_f16 v41, 0x3b15bbc4, v15, v45 op_sel_hi:[1,0,1]
	v_add_f16_e32 v1, v38, v1
	v_pk_fma_f16 v38, 0xb9fdbbc4, v44, v32 op_sel_hi:[1,0,1]
	v_pk_add_f16 v42, v42, v30 op_sel_hi:[1,0]
	v_pk_add_f16 v7, v7, v29
	v_pk_add_f16 v29, v47, v56
	v_add_f16_e32 v34, v34, v1
	v_pk_fma_f16 v43, 0xb9fdb5ac, v23, v43 op_sel_hi:[1,0,1] neg_lo:[0,0,1] neg_hi:[0,0,1]
	v_pk_add_f16 v38, v42, v38
	v_pk_add_f16 v7, v7, v40
	;; [unrolled: 1-line block ×3, first 2 shown]
	v_add_f16_e32 v68, v33, v34
	v_pk_fma_f16 v29, 0x3b15b5ac, v27, v52 op_sel_hi:[1,0,1]
	v_pk_mul_f16 v33, 0xbbf13770, v4 op_sel_hi:[1,0]
	v_pk_add_f16 v7, v7, v43
	v_pk_fma_f16 v34, 0x2fb7b9fd, v19, v39 op_sel_hi:[1,0,1] neg_lo:[0,0,1] neg_hi:[0,0,1]
	v_pk_fma_f16 v39, 0xb5ac2fb7, v31, v50 op_sel_hi:[1,0,1] neg_lo:[0,0,1] neg_hi:[0,0,1]
	v_pk_add_f16 v29, v38, v29
	v_pk_fma_f16 v38, 0x2fb73b15, v23, v33 op_sel_hi:[1,0,1]
	v_pk_mul_f16 v40, 0x33a8ba95, v5 op_sel_hi:[1,0]
	v_pk_add_f16 v7, v7, v34
	v_pk_add_f16 v34, v39, v30 op_sel_hi:[1,0]
	v_pk_fma_f16 v32, 0xb9fdbbc4, v44, v32 op_sel_hi:[1,0,1] neg_lo:[0,0,1] neg_hi:[0,0,1]
	v_pk_add_f16 v29, v29, v38
	v_pk_fma_f16 v38, 0xbbc4388b, v19, v40 op_sel_hi:[1,0,1]
	v_pk_mul_f16 v28, 0xb3a8b94e, v28 op_sel_hi:[1,0]
	v_pk_mul_f16 v2, 0x37703bf1, v2 op_sel_hi:[1,0]
	v_pk_add_f16 v32, v34, v32
	v_pk_fma_f16 v34, 0x3b15b5ac, v27, v52 op_sel_hi:[1,0,1] neg_lo:[0,0,1] neg_hi:[0,0,1]
	v_pk_add_f16 v70, v29, v38
	v_pk_fma_f16 v29, 0xbbc4b9fd, v31, v28 op_sel_hi:[1,0,1]
	v_pk_fma_f16 v33, 0x2fb73b15, v23, v33 op_sel_hi:[1,0,1] neg_lo:[0,0,1] neg_hi:[0,0,1]
	v_pk_mul_f16 v3, 0xb94eba95, v3 op_sel_hi:[1,0]
	v_pk_add_f16 v32, v32, v34
	v_pk_fma_f16 v34, 0x3b152fb7, v44, v2 op_sel_hi:[1,0,1]
	v_pk_add_f16 v29, v29, v30 op_sel_hi:[1,0]
	v_pk_fma_f16 v28, 0xbbc4b9fd, v31, v28 op_sel_hi:[1,0,1] neg_lo:[0,0,1] neg_hi:[0,0,1]
	v_pk_mul_f16 v4, 0x3a9533a8, v4 op_sel_hi:[1,0]
	v_pk_add_f16 v31, v32, v33
	v_pk_fma_f16 v32, 0xb9fd388b, v27, v3 op_sel_hi:[1,0,1]
	v_pk_add_f16 v29, v29, v34
	v_pk_add_f16 v28, v28, v30 op_sel_hi:[1,0]
	v_pk_fma_f16 v2, 0x3b152fb7, v44, v2 op_sel_hi:[1,0,1] neg_lo:[0,0,1] neg_hi:[0,0,1]
	v_pk_fma_f16 v3, 0xb9fd388b, v27, v3 op_sel_hi:[1,0,1] neg_lo:[0,0,1] neg_hi:[0,0,1]
	v_pk_mul_f16 v38, 0x3a95b94e, v6 op_sel_hi:[1,0]
	v_pk_add_f16 v29, v29, v32
	v_pk_fma_f16 v32, 0x388bbbc4, v23, v4 op_sel_hi:[1,0,1]
	v_pk_add_f16 v2, v28, v2
	v_pk_fma_f16 v30, 0xbbc4388b, v19, v40 op_sel_hi:[1,0,1] neg_lo:[0,0,1] neg_hi:[0,0,1]
	v_pk_fma_f16 v69, 0x3b15bbc4, v15, v45 op_sel_hi:[1,0,1] neg_lo:[0,0,1] neg_hi:[0,0,1]
	v_pk_fma_f16 v71, 0x388bb9fd, v15, v38 op_sel_hi:[1,0,1]
	v_pk_add_f16 v74, v29, v32
	v_pk_add_f16 v2, v2, v3
	v_pk_fma_f16 v3, 0x388bbbc4, v23, v4 op_sel_hi:[1,0,1] neg_lo:[0,0,1] neg_hi:[0,0,1]
	v_lshlrev_b32_e32 v29, 1, v49
	v_mul_i32_i24_e32 v4, 0xffffffe8, v22
	v_lshlrev_b32_e32 v23, 1, v22
	v_pk_add_f16 v72, v31, v30
	v_pk_fma_f16 v73, 0x388bb9fd, v15, v38 op_sel_hi:[1,0,1] neg_lo:[0,0,1] neg_hi:[0,0,1]
	s_waitcnt lgkmcnt(0)
	v_add3_u32 v28, v9, v4, v29
	v_add3_u32 v27, 0, v29, v23
	s_barrier
	buffer_gl0_inv
	ds_read_u16 v47, v28 offset:780
	ds_read_u16 v38, v28 offset:910
	ds_read_u16 v34, v27
	ds_read_u16 v33, v28 offset:130
	ds_read_u16 v31, v28 offset:260
	;; [unrolled: 1-line block ×22, first 2 shown]
	v_pk_mul_f16 v5, 0xbb7b3770, v5 op_sel_hi:[1,0]
	v_pk_mul_f16 v6, 0x3bf1bb7b, v6 op_sel_hi:[1,0]
	v_pk_add_f16 v2, v2, v3
	v_pk_add_f16 v7, v7, v69
	;; [unrolled: 1-line block ×3, first 2 shown]
	v_pk_fma_f16 v3, 0xb5ac3b15, v19, v5 op_sel_hi:[1,0,1] neg_lo:[0,0,1] neg_hi:[0,0,1]
	v_pk_fma_f16 v75, 0xb5ac3b15, v19, v5 op_sel_hi:[1,0,1]
	v_pk_fma_f16 v4, 0x2fb7b5ac, v15, v6 op_sel_hi:[1,0,1] neg_lo:[0,0,1] neg_hi:[0,0,1]
	v_pk_fma_f16 v6, 0x2fb7b5ac, v15, v6 op_sel_hi:[1,0,1]
	v_add_nc_u32_e32 v23, 0x41, v22
	v_pk_add_f16 v3, v2, v3
	v_pk_add_f16 v5, v74, v75
	;; [unrolled: 1-line block ×3, first 2 shown]
	s_waitcnt lgkmcnt(0)
	s_barrier
	v_pk_add_f16 v4, v3, v4
	v_pk_add_f16 v3, v5, v6
	v_alignbit_b32 v5, v9, v9, 16
	v_alignbit_b32 v6, v7, v7, 16
	buffer_gl0_inv
	v_alignbit_b32 v4, v4, v4, 16
	ds_write_b16 v67, v68
	ds_write_b128 v67, v[1:4] offset:2
	ds_write_b64 v67, v[5:6] offset:18
	s_and_saveexec_b32 s1, s0
	s_cbranch_execz .LBB0_17
; %bb.16:
	v_add_f16_e32 v1, v0, v66
	v_sub_f16_e32 v3, v36, v65
	v_add_f16_e32 v2, v66, v8
	v_sub_f16_e32 v5, v35, v58
	v_sub_f16_e32 v16, v16, v18
	v_add_f16_e32 v1, v1, v64
	v_pk_mul_f16 v18, 0xba95b770, v3 op_sel_hi:[1,0]
	v_add_f16_e32 v4, v64, v10
	v_sub_f16_e32 v7, v26, v55
	v_add_f16_e32 v19, v37, v13
	v_add_f16_e32 v1, v1, v59
	v_pk_mul_f16 v26, 0xbb7bba95, v5 op_sel_hi:[1,0]
	v_add_f16_e32 v6, v59, v11
	v_sub_f16_e32 v15, v25, v48
	v_pk_mul_f16 v35, 0xb3a8bbf1, v7 op_sel_hi:[1,0]
	v_add_f16_e32 v1, v1, v57
	v_pk_fma_f16 v58, 0xb5ac388b, v4, v26 op_sel_hi:[1,0,1]
	v_pk_fma_f16 v26, 0xb5ac388b, v4, v26 op_sel_hi:[1,0,1] neg_lo:[0,0,1] neg_hi:[0,0,1]
	v_add_f16_e32 v9, v57, v12
	v_sub_f16_e32 v17, v17, v46
	v_add_f16_e32 v1, v1, v37
	v_pk_mul_f16 v36, 0x394ebb7b, v15 op_sel_hi:[1,0]
	v_pk_fma_f16 v57, 0x388b3b15, v2, v18 op_sel_hi:[1,0,1]
	v_pk_fma_f16 v59, 0xbbc42fb7, v6, v35 op_sel_hi:[1,0,1]
	v_pk_fma_f16 v35, 0xbbc42fb7, v6, v35 op_sel_hi:[1,0,1] neg_lo:[0,0,1] neg_hi:[0,0,1]
	v_add_f16_e32 v1, v1, v24
	v_pk_mul_f16 v37, 0x3bf1b94e, v17 op_sel_hi:[1,0]
	v_pk_mul_f16 v48, 0xbb7bbbf1, v3 op_sel_hi:[1,0]
	v_pk_add_f16 v57, v0, v57 op_sel_hi:[0,1]
	v_add_f16_e32 v25, v24, v14
	v_add_f16_e32 v1, v1, v14
	v_pk_mul_f16 v46, 0x3770b3a8, v16 op_sel_hi:[1,0]
	v_pk_mul_f16 v55, 0x394eb3a8, v5 op_sel_hi:[1,0]
	;; [unrolled: 1-line block ×3, first 2 shown]
	v_pk_fma_f16 v14, 0xb9fdb5ac, v9, v36 op_sel_hi:[1,0,1]
	v_add_f16_e32 v1, v13, v1
	v_pk_fma_f16 v13, 0x388b3b15, v2, v18 op_sel_hi:[1,0,1] neg_lo:[0,0,1] neg_hi:[0,0,1]
	v_pk_add_f16 v18, v57, v58
	v_pk_mul_f16 v3, 0xb3a8b94e, v3 op_sel_hi:[1,0]
	v_pk_mul_f16 v5, 0x37703bf1, v5 op_sel_hi:[1,0]
	v_add_f16_e32 v1, v12, v1
	v_pk_add_f16 v13, v0, v13 op_sel_hi:[0,1]
	v_pk_fma_f16 v12, 0xb9fdb5ac, v9, v36 op_sel_hi:[1,0,1] neg_lo:[0,0,1] neg_hi:[0,0,1]
	v_pk_add_f16 v18, v18, v59
	v_pk_fma_f16 v36, 0xb5ac2fb7, v2, v48 op_sel_hi:[1,0,1]
	v_add_f16_e32 v1, v11, v1
	v_pk_add_f16 v13, v13, v26
	v_pk_fma_f16 v26, 0xb5ac2fb7, v2, v48 op_sel_hi:[1,0,1] neg_lo:[0,0,1] neg_hi:[0,0,1]
	v_pk_fma_f16 v11, 0xb9fdbbc4, v4, v55 op_sel_hi:[1,0,1]
	v_pk_add_f16 v14, v18, v14
	v_pk_add_f16 v18, v0, v36 op_sel_hi:[0,1]
	v_pk_add_f16 v13, v13, v35
	v_pk_add_f16 v26, v0, v26 op_sel_hi:[0,1]
	v_pk_fma_f16 v35, 0xb9fdbbc4, v4, v55 op_sel_hi:[1,0,1] neg_lo:[0,0,1] neg_hi:[0,0,1]
	v_add_f16_e32 v1, v10, v1
	v_pk_fma_f16 v10, 0x3b15b5ac, v6, v24 op_sel_hi:[1,0,1]
	v_pk_add_f16 v12, v13, v12
	v_pk_fma_f16 v13, 0x2fb7b9fd, v19, v37 op_sel_hi:[1,0,1] neg_lo:[0,0,1] neg_hi:[0,0,1]
	v_pk_fma_f16 v24, 0x3b15b5ac, v6, v24 op_sel_hi:[1,0,1] neg_lo:[0,0,1] neg_hi:[0,0,1]
	v_pk_fma_f16 v64, 0x2fb7b9fd, v19, v37 op_sel_hi:[1,0,1]
	v_pk_add_f16 v11, v18, v11
	v_pk_mul_f16 v18, 0xbbf13770, v15 op_sel_hi:[1,0]
	v_pk_add_f16 v12, v12, v13
	v_pk_fma_f16 v13, 0x3b15bbc4, v25, v46 op_sel_hi:[1,0,1] neg_lo:[0,0,1] neg_hi:[0,0,1]
	v_pk_mul_f16 v7, 0xb94eba95, v7 op_sel_hi:[1,0]
	v_pk_fma_f16 v65, 0x3b15bbc4, v25, v46 op_sel_hi:[1,0,1]
	v_pk_add_f16 v14, v14, v64
	v_pk_mul_f16 v15, 0x3a9533a8, v15 op_sel_hi:[1,0]
	v_pk_add_f16 v12, v12, v13
	v_pk_add_f16 v13, v26, v35
	v_pk_fma_f16 v26, 0xbbc4b9fd, v2, v3 op_sel_hi:[1,0,1] neg_lo:[0,0,1] neg_hi:[0,0,1]
	v_pk_fma_f16 v2, 0xbbc4b9fd, v2, v3 op_sel_hi:[1,0,1]
	v_add_f16_e32 v8, v8, v1
	v_pk_add_f16 v1, v14, v65
	v_pk_add_f16 v3, v13, v24
	v_pk_add_f16 v13, v0, v26 op_sel_hi:[0,1]
	v_pk_fma_f16 v24, 0x3b152fb7, v4, v5 op_sel_hi:[1,0,1] neg_lo:[0,0,1] neg_hi:[0,0,1]
	v_pk_add_f16 v0, v0, v2 op_sel_hi:[0,1]
	v_pk_fma_f16 v2, 0x3b152fb7, v4, v5 op_sel_hi:[1,0,1]
	v_pk_fma_f16 v4, 0x2fb73b15, v9, v18 op_sel_hi:[1,0,1] neg_lo:[0,0,1] neg_hi:[0,0,1]
	v_pk_add_f16 v10, v11, v10
	v_pk_add_f16 v5, v13, v24
	v_pk_fma_f16 v13, 0xb9fd388b, v6, v7 op_sel_hi:[1,0,1] neg_lo:[0,0,1] neg_hi:[0,0,1]
	v_pk_fma_f16 v11, 0x2fb73b15, v9, v18 op_sel_hi:[1,0,1]
	v_pk_mul_f16 v14, 0x33a8ba95, v17 op_sel_hi:[1,0]
	v_pk_add_f16 v0, v0, v2
	v_pk_fma_f16 v2, 0xb9fd388b, v6, v7 op_sel_hi:[1,0,1]
	v_pk_add_f16 v3, v3, v4
	v_pk_add_f16 v4, v5, v13
	v_pk_fma_f16 v5, 0x388bbbc4, v9, v15 op_sel_hi:[1,0,1] neg_lo:[0,0,1] neg_hi:[0,0,1]
	v_pk_mul_f16 v6, 0xbb7b3770, v17 op_sel_hi:[1,0]
	v_pk_add_f16 v10, v10, v11
	v_pk_fma_f16 v11, 0xbbc4388b, v19, v14 op_sel_hi:[1,0,1]
	v_pk_add_f16 v0, v0, v2
	v_pk_fma_f16 v2, 0x388bbbc4, v9, v15 op_sel_hi:[1,0,1]
	v_pk_add_f16 v4, v4, v5
	v_pk_fma_f16 v5, 0xb5ac3b15, v19, v6 op_sel_hi:[1,0,1] neg_lo:[0,0,1] neg_hi:[0,0,1]
	v_pk_mul_f16 v9, 0x3bf1bb7b, v16 op_sel_hi:[1,0]
	v_pk_add_f16 v10, v10, v11
	v_pk_mul_f16 v11, 0x3a95b94e, v16 op_sel_hi:[1,0]
	v_pk_fma_f16 v7, 0xbbc4388b, v19, v14 op_sel_hi:[1,0,1] neg_lo:[0,0,1] neg_hi:[0,0,1]
	v_pk_add_f16 v0, v0, v2
	v_pk_fma_f16 v2, 0xb5ac3b15, v19, v6 op_sel_hi:[1,0,1]
	v_pk_add_f16 v4, v4, v5
	v_pk_fma_f16 v5, 0x2fb7b5ac, v25, v9 op_sel_hi:[1,0,1] neg_lo:[0,0,1] neg_hi:[0,0,1]
	v_pk_add_f16 v3, v3, v7
	v_pk_fma_f16 v6, 0x388bb9fd, v25, v11 op_sel_hi:[1,0,1] neg_lo:[0,0,1] neg_hi:[0,0,1]
	v_pk_add_f16 v0, v0, v2
	v_pk_fma_f16 v7, 0x2fb7b5ac, v25, v9 op_sel_hi:[1,0,1]
	v_mul_u32_u24_e32 v9, 26, v23
	v_pk_fma_f16 v35, 0x388bb9fd, v25, v11 op_sel_hi:[1,0,1]
	v_pk_add_f16 v4, v4, v5
	v_pk_add_f16 v5, v3, v6
	;; [unrolled: 1-line block ×3, first 2 shown]
	v_add3_u32 v0, 0, v9, v29
	v_pk_add_f16 v2, v10, v35
	v_alignbit_b32 v4, v4, v4, 16
	v_alignbit_b32 v5, v5, v5, 16
	;; [unrolled: 1-line block ×3, first 2 shown]
	ds_write_b16 v0, v8
	ds_write_b128 v0, v[1:4] offset:2
	ds_write_b64 v0, v[5:6] offset:18
.LBB0_17:
	s_or_b32 exec_lo, exec_lo, s1
	v_and_b32_e32 v0, 0xff, v22
	v_and_b32_e32 v1, 0xff, v23
	v_add_nc_u32_e32 v24, 0x104, v22
	v_mov_b32_e32 v2, 0x4ec5
	v_add_nc_u32_e32 v25, 0xc3, v22
	v_mul_lo_u16 v0, 0x4f, v0
	v_mov_b32_e32 v35, 4
	v_add_nc_u32_e32 v26, 0x82, v22
	s_waitcnt lgkmcnt(0)
	s_barrier
	v_lshrrev_b16 v37, 10, v0
	v_mul_lo_u16 v0, 0x4f, v1
	buffer_gl0_inv
	v_and_b32_e32 v36, 0xff, v26
	v_mul_lo_u16 v1, v37, 13
	v_lshrrev_b16 v57, 10, v0
	v_mul_u32_u24_sdwa v0, v24, v2 dst_sel:DWORD dst_unused:UNUSED_PAD src0_sel:WORD_0 src1_sel:DWORD
	v_mul_u32_u24_sdwa v2, v25, v2 dst_sel:DWORD dst_unused:UNUSED_PAD src0_sel:WORD_0 src1_sel:DWORD
	v_sub_nc_u16 v58, v22, v1
	v_mul_lo_u16 v1, v57, 13
	v_lshrrev_b32_e32 v55, 18, v0
	v_lshrrev_b32_e32 v64, 18, v2
	v_lshlrev_b32_sdwa v3, v35, v58 dst_sel:DWORD dst_unused:UNUSED_PAD src0_sel:DWORD src1_sel:BYTE_0
	v_sub_nc_u16 v65, v23, v1
	v_mul_lo_u16 v0, v55, 13
	global_load_dwordx4 v[16:19], v3, s[8:9]
	v_lshlrev_b32_sdwa v1, v35, v65 dst_sel:DWORD dst_unused:UNUSED_PAD src0_sel:DWORD src1_sel:BYTE_0
	v_sub_nc_u16 v59, v24, v0
	global_load_dwordx4 v[8:11], v1, s[8:9]
	v_lshlrev_b32_sdwa v0, v35, v59 dst_sel:DWORD dst_unused:UNUSED_PAD src0_sel:DWORD src1_sel:WORD_0
	global_load_dwordx4 v[12:15], v0, s[8:9]
	v_mul_lo_u16 v1, v64, 13
	v_sub_nc_u16 v66, v25, v1
	v_mul_lo_u16 v1, 0x4f, v36
	v_lshlrev_b32_sdwa v0, v35, v66 dst_sel:DWORD dst_unused:UNUSED_PAD src0_sel:DWORD src1_sel:WORD_0
	v_lshrrev_b16 v68, 10, v1
	global_load_dwordx4 v[4:7], v0, s[8:9]
	v_mul_lo_u16 v0, v68, 13
	v_sub_nc_u16 v67, v26, v0
	v_lshlrev_b32_sdwa v0, v35, v67 dst_sel:DWORD dst_unused:UNUSED_PAD src0_sel:DWORD src1_sel:BYTE_0
	global_load_dwordx4 v[0:3], v0, s[8:9]
	ds_read_u16 v80, v28 offset:1950
	ds_read_u16 v78, v28 offset:2600
	;; [unrolled: 1-line block ×5, first 2 shown]
	ds_read_u16 v48, v27
	ds_read_u16 v46, v28 offset:130
	ds_read_u16 v82, v28 offset:1300
	;; [unrolled: 1-line block ×19, first 2 shown]
	s_waitcnt vmcnt(0) lgkmcnt(0)
	s_barrier
	buffer_gl0_inv
	v_mul_f16_sdwa v92, v81, v16 dst_sel:DWORD dst_unused:UNUSED_PAD src0_sel:DWORD src1_sel:WORD_1
	v_mul_f16_sdwa v93, v62, v16 dst_sel:DWORD dst_unused:UNUSED_PAD src0_sel:DWORD src1_sel:WORD_1
	;; [unrolled: 1-line block ×18, first 2 shown]
	v_fma_f16 v62, v62, v16, -v92
	v_mul_f16_sdwa v92, v83, v13 dst_sel:DWORD dst_unused:UNUSED_PAD src0_sel:DWORD src1_sel:WORD_1
	v_fmac_f16_e32 v93, v81, v16
	v_mul_f16_sdwa v16, v52, v13 dst_sel:DWORD dst_unused:UNUSED_PAD src0_sel:DWORD src1_sel:WORD_1
	v_fma_f16 v63, v63, v17, -v94
	v_mul_f16_sdwa v81, v88, v14 dst_sel:DWORD dst_unused:UNUSED_PAD src0_sel:DWORD src1_sel:WORD_1
	v_fmac_f16_e32 v95, v82, v17
	v_mul_f16_sdwa v17, v54, v14 dst_sel:DWORD dst_unused:UNUSED_PAD src0_sel:DWORD src1_sel:WORD_1
	;; [unrolled: 4-line block ×4, first 2 shown]
	v_mul_f16_sdwa v78, v73, v5 dst_sel:DWORD dst_unused:UNUSED_PAD src0_sel:DWORD src1_sel:WORD_1
	v_mul_f16_sdwa v94, v44, v5 dst_sel:DWORD dst_unused:UNUSED_PAD src0_sel:DWORD src1_sel:WORD_1
	;; [unrolled: 1-line block ×4, first 2 shown]
	v_fma_f16 v47, v47, v8, -v100
	v_mul_f16_sdwa v100, v86, v7 dst_sel:DWORD dst_unused:UNUSED_PAD src0_sel:DWORD src1_sel:WORD_1
	v_fmac_f16_e32 v101, v75, v8
	v_mul_f16_sdwa v8, v42, v7 dst_sel:DWORD dst_unused:UNUSED_PAD src0_sel:DWORD src1_sel:WORD_1
	v_fma_f16 v49, v49, v9, -v102
	v_fmac_f16_e32 v103, v77, v9
	v_fma_f16 v9, v50, v10, -v104
	v_fmac_f16_e32 v105, v79, v10
	;; [unrolled: 2-line block ×7, first 2 shown]
	v_mul_f16_sdwa v15, v69, v0 dst_sel:DWORD dst_unused:UNUSED_PAD src0_sel:DWORD src1_sel:WORD_1
	v_mul_f16_sdwa v50, v38, v0 dst_sel:DWORD dst_unused:UNUSED_PAD src0_sel:DWORD src1_sel:WORD_1
	v_fma_f16 v45, v45, v4, -v80
	v_mul_f16_sdwa v51, v70, v1 dst_sel:DWORD dst_unused:UNUSED_PAD src0_sel:DWORD src1_sel:WORD_1
	v_fmac_f16_e32 v19, v74, v4
	v_mul_f16_sdwa v4, v39, v1 dst_sel:DWORD dst_unused:UNUSED_PAD src0_sel:DWORD src1_sel:WORD_1
	v_fma_f16 v44, v44, v5, -v78
	v_mul_f16_sdwa v52, v71, v2 dst_sel:DWORD dst_unused:UNUSED_PAD src0_sel:DWORD src1_sel:WORD_1
	v_fmac_f16_e32 v94, v73, v5
	;; [unrolled: 4-line block ×3, first 2 shown]
	v_mul_f16_sdwa v6, v41, v3 dst_sel:DWORD dst_unused:UNUSED_PAD src0_sel:DWORD src1_sel:WORD_1
	v_fma_f16 v42, v42, v7, -v100
	v_fmac_f16_e32 v8, v86, v7
	v_fma_f16 v7, v38, v0, -v15
	v_fmac_f16_e32 v50, v69, v0
	;; [unrolled: 2-line block ×5, first 2 shown]
	v_add_f16_e32 v3, v34, v62
	v_sub_f16_e32 v41, v63, v62
	v_sub_f16_e32 v51, v60, v61
	v_add_f16_e32 v52, v48, v93
	v_add_f16_e32 v53, v95, v97
	v_sub_f16_e32 v54, v93, v95
	v_sub_f16_e32 v56, v99, v97
	v_add_f16_e32 v69, v93, v99
	v_add_f16_e32 v72, v33, v47
	;; [unrolled: 1-line block ×4, first 2 shown]
	v_sub_f16_e32 v77, v49, v47
	v_sub_f16_e32 v78, v9, v10
	;; [unrolled: 1-line block ×10, first 2 shown]
	v_add_f16_e32 v79, v103, v105
	v_sub_f16_e32 v80, v101, v103
	v_sub_f16_e32 v81, v107, v105
	v_add_f16_e32 v82, v101, v107
	v_add_f16_e32 v85, v46, v101
	v_sub_f16_e32 v86, v11, v12
	v_sub_f16_e32 v87, v14, v13
	v_add_f16_e32 v88, v12, v13
	v_add_f16_e32 v92, v11, v14
	;; [unrolled: 1-line block ×4, first 2 shown]
	v_sub_f16_e32 v51, v19, v94
	v_add_f16_e32 v54, v54, v56
	v_sub_f16_e32 v56, v8, v98
	v_fma_f16 v53, -0.5, v53, v48
	v_fmac_f16_e32 v48, -0.5, v69
	v_add_f16_e32 v69, v94, v98
	v_fma_f16 v73, -0.5, v73, v33
	v_fmac_f16_e32 v33, -0.5, v76
	v_sub_f16_e32 v76, v94, v19
	v_add_f16_e32 v77, v77, v78
	v_sub_f16_e32 v78, v98, v8
	v_add_f16_e32 v83, v83, v84
	;; [unrolled: 2-line block ×3, first 2 shown]
	v_add_f16_e32 v52, v52, v95
	v_add_f16_e32 v49, v72, v49
	;; [unrolled: 1-line block ×5, first 2 shown]
	v_sub_f16_e32 v100, v45, v44
	v_add_f16_e32 v104, v44, v43
	v_add_f16_e32 v38, v38, v39
	v_sub_f16_e32 v39, v44, v45
	v_add_f16_e32 v70, v70, v71
	v_add_f16_e32 v71, v19, v8
	;; [unrolled: 1-line block ×5, first 2 shown]
	v_sub_f16_e32 v81, v63, v60
	v_fma_f16 v79, -0.5, v79, v46
	v_fmac_f16_e32 v46, -0.5, v82
	v_sub_f16_e32 v82, v95, v97
	v_add_f16_e32 v86, v86, v87
	v_sub_f16_e32 v87, v103, v105
	v_fma_f16 v88, -0.5, v88, v32
	v_fmac_f16_e32 v32, -0.5, v92
	v_sub_f16_e32 v92, v44, v43
	v_add_f16_e32 v51, v51, v56
	v_fma_f16 v56, -0.5, v69, v90
	v_add_f16_e32 v69, v76, v78
	v_add_f16_e32 v63, v85, v103
	v_add_f16_e32 v76, v0, v1
	v_add_f16_e32 v78, v7, v2
	v_add_f16_e32 v85, v31, v7
	v_sub_f16_e32 v95, v0, v7
	v_sub_f16_e32 v103, v1, v2
	v_add_f16_e32 v44, v108, v44
	v_add_f16_e32 v3, v3, v60
	v_add_f16_e32 v60, v4, v5
	v_add_f16_e32 v52, v52, v97
	v_add_f16_e32 v97, v50, v6
	v_add_f16_e32 v9, v49, v9
	v_add_f16_e32 v49, v91, v50
	v_sub_f16_e32 v102, v42, v43
	v_fma_f16 v15, -0.5, v15, v34
	v_fmac_f16_e32 v34, -0.5, v40
	v_sub_f16_e32 v40, v43, v42
	v_sub_f16_e32 v93, v93, v99
	v_fmac_f16_e32 v90, -0.5, v71
	v_sub_f16_e32 v71, v7, v0
	v_sub_f16_e32 v72, v2, v1
	;; [unrolled: 1-line block ×3, first 2 shown]
	v_add_f16_e32 v75, v75, v94
	v_add_f16_e32 v63, v63, v105
	v_sub_f16_e32 v105, v4, v50
	v_fma_f16 v76, -0.5, v76, v31
	v_fmac_f16_e32 v31, -0.5, v78
	v_sub_f16_e32 v78, v0, v1
	v_add_f16_e32 v95, v95, v103
	v_sub_f16_e32 v103, v4, v5
	v_fma_f16 v60, -0.5, v60, v91
	v_fmac_f16_e32 v91, -0.5, v97
	v_add_f16_e32 v43, v44, v43
	v_add_f16_e32 v0, v85, v0
	;; [unrolled: 1-line block ×5, first 2 shown]
	v_sub_f16_e32 v72, v5, v6
	v_sub_f16_e32 v7, v7, v2
	v_add_f16_e32 v44, v75, v98
	v_fmamk_f16 v75, v93, 0x3b9c, v15
	v_fmac_f16_e32 v15, 0xbb9c, v93
	v_add_f16_e32 v0, v0, v1
	v_add_f16_e32 v1, v4, v5
	;; [unrolled: 1-line block ×3, first 2 shown]
	v_fmamk_f16 v43, v78, 0x3b9c, v91
	v_fmac_f16_e32 v91, 0xbb9c, v78
	v_add_f16_e32 v100, v100, v102
	v_sub_f16_e32 v102, v94, v98
	v_sub_f16_e32 v62, v62, v61
	v_sub_f16_e32 v45, v45, v42
	v_fma_f16 v104, -0.5, v104, v30
	v_fmac_f16_e32 v30, -0.5, v106
	v_sub_f16_e32 v106, v109, v18
	v_add_f16_e32 v72, v105, v72
	v_fmamk_f16 v97, v82, 0xbb9c, v34
	v_fmac_f16_e32 v34, 0x3b9c, v82
	v_fmamk_f16 v105, v81, 0x3b9c, v48
	v_fmac_f16_e32 v48, 0xbb9c, v81
	v_fmac_f16_e32 v75, 0x38b4, v82
	;; [unrolled: 1-line block ×3, first 2 shown]
	v_fmamk_f16 v42, v7, 0xbb9c, v60
	v_fmac_f16_e32 v60, 0x3b9c, v7
	v_add_f16_e32 v2, v0, v2
	v_fmac_f16_e32 v43, 0xb8b4, v7
	v_fmac_f16_e32 v91, 0x38b4, v7
	v_sub_f16_e32 v0, v12, v11
	v_sub_f16_e32 v7, v13, v14
	;; [unrolled: 1-line block ×3, first 2 shown]
	v_add_f16_e32 v39, v39, v40
	v_sub_f16_e32 v40, v16, v17
	v_add_f16_e32 v96, v96, v12
	v_fmamk_f16 v98, v62, 0xbb9c, v53
	v_fmac_f16_e32 v53, 0x3b9c, v62
	v_fmac_f16_e32 v97, 0x38b4, v93
	v_fmac_f16_e32 v34, 0xb8b4, v93
	v_fmamk_f16 v93, v102, 0xbb9c, v30
	v_fmac_f16_e32 v30, 0x3b9c, v102
	v_fmac_f16_e32 v105, 0xb8b4, v62
	v_fmac_f16_e32 v48, 0x38b4, v62
	;; [unrolled: 4-line block ×3, first 2 shown]
	v_add_f16_e32 v38, v16, v17
	v_add_f16_e32 v0, v0, v7
	;; [unrolled: 1-line block ×3, first 2 shown]
	v_sub_f16_e32 v94, v6, v5
	v_sub_f16_e32 v50, v50, v6
	v_add_f16_e32 v96, v96, v13
	v_fmac_f16_e32 v93, 0x38b4, v19
	v_fmac_f16_e32 v30, 0xb8b4, v19
	;; [unrolled: 1-line block ×3, first 2 shown]
	v_add_f16_e32 v6, v1, v6
	v_fmamk_f16 v1, v40, 0xbb9c, v32
	v_fmac_f16_e32 v88, 0xb8b4, v40
	v_fma_f16 v38, -0.5, v38, v89
	v_sub_f16_e32 v11, v11, v14
	v_fmac_f16_e32 v32, 0x3b9c, v40
	v_add_f16_e32 v7, v7, v16
	v_add_f16_e32 v40, v109, v18
	;; [unrolled: 1-line block ×4, first 2 shown]
	v_fmac_f16_e32 v93, 0x34f2, v39
	v_fmac_f16_e32 v30, 0x34f2, v39
	v_fmac_f16_e32 v1, 0x38b4, v106
	v_fmamk_f16 v14, v11, 0xbb9c, v38
	v_sub_f16_e32 v12, v12, v13
	v_sub_f16_e32 v13, v109, v16
	;; [unrolled: 1-line block ×3, first 2 shown]
	v_fmac_f16_e32 v32, 0xb8b4, v106
	v_add_f16_e32 v7, v7, v17
	v_fmac_f16_e32 v89, -0.5, v40
	v_fmac_f16_e32 v38, 0x3b9c, v11
	v_fmac_f16_e32 v1, 0x34f2, v0
	;; [unrolled: 1-line block ×3, first 2 shown]
	v_add_f16_e32 v13, v13, v39
	v_fmac_f16_e32 v32, 0x34f2, v0
	v_add_f16_e32 v39, v7, v18
	v_fmamk_f16 v40, v12, 0x3b9c, v89
	v_fmac_f16_e32 v38, 0x38b4, v12
	v_sub_f16_e32 v7, v16, v109
	v_sub_f16_e32 v16, v17, v18
	v_fmac_f16_e32 v89, 0xbb9c, v12
	v_and_b32_e32 v12, 0xffff, v37
	v_mov_b32_e32 v0, 1
	v_fmac_f16_e32 v40, 0xb8b4, v11
	v_add_f16_e32 v7, v7, v16
	v_fmac_f16_e32 v89, 0x38b4, v11
	v_mad_u32_u24 v11, 0x82, v12, 0
	v_lshlrev_b32_sdwa v12, v0, v58 dst_sel:DWORD dst_unused:UNUSED_PAD src0_sel:DWORD src1_sel:BYTE_0
	v_sub_f16_e32 v101, v101, v107
	v_add_f16_e32 v3, v3, v61
	v_fmac_f16_e32 v40, 0x34f2, v7
	v_fmac_f16_e32 v89, 0x34f2, v7
	v_and_b32_e32 v7, 0xffff, v57
	v_add3_u32 v11, v11, v12, v29
	v_add_f16_e32 v94, v108, v94
	v_fmamk_f16 v108, v101, 0x3b9c, v73
	v_fmamk_f16 v85, v87, 0xbb9c, v33
	v_fmac_f16_e32 v33, 0x3b9c, v87
	v_mad_u32_u24 v7, 0x82, v7, 0
	v_lshlrev_b32_sdwa v12, v0, v65 dst_sel:DWORD dst_unused:UNUSED_PAD src0_sel:DWORD src1_sel:BYTE_0
	ds_write_b16 v11, v3
	v_and_b32_e32 v3, 0xffff, v68
	v_fmac_f16_e32 v73, 0xbb9c, v101
	v_fmac_f16_e32 v108, 0x38b4, v87
	;; [unrolled: 1-line block ×3, first 2 shown]
	v_fmamk_f16 v8, v50, 0x3b9c, v76
	v_fmac_f16_e32 v33, 0xb8b4, v101
	v_fmac_f16_e32 v34, 0x34f2, v41
	v_add3_u32 v7, v7, v12, v29
	v_mad_u32_u24 v3, 0x82, v3, 0
	v_lshlrev_b32_sdwa v12, v0, v67 dst_sel:DWORD dst_unused:UNUSED_PAD src0_sel:DWORD src1_sel:BYTE_0
	v_sub_f16_e32 v47, v47, v10
	v_fmamk_f16 v82, v19, 0x3b9c, v104
	v_fmac_f16_e32 v104, 0xbb9c, v19
	v_add_f16_e32 v9, v9, v10
	v_fmac_f16_e32 v73, 0xb8b4, v87
	v_fmamk_f16 v19, v103, 0xbb9c, v31
	v_fmac_f16_e32 v97, 0x34f2, v41
	v_fmac_f16_e32 v31, 0x3b9c, v103
	;; [unrolled: 1-line block ×7, first 2 shown]
	ds_write_b16 v11, v75 offset:26
	ds_write_b16 v11, v97 offset:52
	;; [unrolled: 1-line block ×4, first 2 shown]
	ds_write_b16 v7, v9
	ds_write_b16 v7, v108 offset:26
	ds_write_b16 v7, v85 offset:52
	v_add3_u32 v12, v3, v12, v29
	v_mad_u32_u24 v3, 0x82, v64, 0
	v_lshlrev_b32_sdwa v9, v0, v66 dst_sel:DWORD dst_unused:UNUSED_PAD src0_sel:DWORD src1_sel:WORD_0
	v_fmamk_f16 v49, v47, 0xbb9c, v79
	v_fmac_f16_e32 v79, 0x3b9c, v47
	v_fmamk_f16 v61, v84, 0x3b9c, v46
	v_fmac_f16_e32 v46, 0xbb9c, v84
	v_add_f16_e32 v52, v52, v99
	v_fmamk_f16 v99, v45, 0xbb9c, v56
	v_fmac_f16_e32 v56, 0x3b9c, v45
	v_fmac_f16_e32 v98, 0xb8b4, v81
	v_fmac_f16_e32 v53, 0x38b4, v81
	v_fmamk_f16 v81, v92, 0x3b9c, v90
	v_fmac_f16_e32 v90, 0xbb9c, v92
	v_fmac_f16_e32 v82, 0x38b4, v102
	;; [unrolled: 1-line block ×10, first 2 shown]
	ds_write_b16 v7, v33 offset:78
	ds_write_b16 v7, v73 offset:104
	ds_write_b16 v12, v2
	ds_write_b16 v12, v8 offset:26
	v_add3_u32 v13, v3, v9, v29
	v_mad_u32_u24 v2, 0x82, v55, 0
	v_lshlrev_b32_sdwa v3, v0, v59 dst_sel:DWORD dst_unused:UNUSED_PAD src0_sel:DWORD src1_sel:WORD_0
	v_fmac_f16_e32 v49, 0xb8b4, v84
	v_fmac_f16_e32 v79, 0x38b4, v84
	;; [unrolled: 1-line block ×20, first 2 shown]
	v_add3_u32 v15, v2, v3, v29
	v_add_f16_e32 v10, v63, v107
	v_fmac_f16_e32 v49, 0x34f2, v80
	v_fmac_f16_e32 v79, 0x34f2, v80
	;; [unrolled: 1-line block ×13, first 2 shown]
	ds_write_b16 v12, v19 offset:52
	ds_write_b16 v12, v31 offset:78
	;; [unrolled: 1-line block ×3, first 2 shown]
	ds_write_b16 v13, v4
	ds_write_b16 v13, v82 offset:26
	ds_write_b16 v13, v93 offset:52
	;; [unrolled: 1-line block ×4, first 2 shown]
	ds_write_b16 v15, v44
	ds_write_b16 v15, v62 offset:26
	ds_write_b16 v15, v1 offset:52
	;; [unrolled: 1-line block ×4, first 2 shown]
	s_waitcnt lgkmcnt(0)
	s_barrier
	buffer_gl0_inv
	ds_read_u16 v51, v28 offset:910
	ds_read_u16 v9, v27
	ds_read_u16 v8, v28 offset:130
	ds_read_u16 v2, v28 offset:260
	;; [unrolled: 1-line block ×23, first 2 shown]
	s_waitcnt lgkmcnt(0)
	s_barrier
	buffer_gl0_inv
	ds_write_b16 v11, v52
	ds_write_b16 v11, v98 offset:26
	ds_write_b16 v11, v105 offset:52
	ds_write_b16 v11, v48 offset:78
	ds_write_b16 v11, v53 offset:104
	ds_write_b16 v7, v10
	ds_write_b16 v7, v49 offset:26
	ds_write_b16 v7, v61 offset:52
	ds_write_b16 v7, v46 offset:78
	ds_write_b16 v7, v79 offset:104
	;; [unrolled: 5-line block ×3, first 2 shown]
	ds_write_b16 v13, v5
	v_lshlrev_b32_e32 v4, 2, v22
	v_mov_b32_e32 v5, 0
	v_mov_b32_e32 v10, 0xfc1
	ds_write_b16 v13, v99 offset:26
	ds_write_b16 v13, v81 offset:52
	;; [unrolled: 1-line block ×4, first 2 shown]
	ds_write_b16 v15, v39
	ds_write_b16 v15, v14 offset:26
	ds_write_b16 v15, v40 offset:52
	;; [unrolled: 1-line block ×4, first 2 shown]
	v_lshlrev_b64 v[6:7], 2, v[4:5]
	v_mul_lo_u16 v4, 0xfd, v36
	v_mul_u32_u24_sdwa v11, v25, v10 dst_sel:DWORD dst_unused:UNUSED_PAD src0_sel:WORD_0 src1_sel:DWORD
	v_mul_u32_u24_sdwa v10, v24, v10 dst_sel:DWORD dst_unused:UNUSED_PAD src0_sel:WORD_0 src1_sel:DWORD
	s_waitcnt lgkmcnt(0)
	s_barrier
	v_lshrrev_b16 v4, 14, v4
	v_lshrrev_b32_e32 v11, 18, v11
	v_add_co_u32 v6, s0, s8, v6
	v_add_co_ci_u32_e64 v7, s0, s9, v7, s0
	v_mul_lo_u16 v4, 0x41, v4
	buffer_gl0_inv
	global_load_dwordx4 v[30:33], v[6:7], off offset:208
	v_sub_nc_u16 v14, v26, v4
	v_mul_lo_u16 v4, 0x41, v11
	v_lshlrev_b32_sdwa v11, v35, v14 dst_sel:DWORD dst_unused:UNUSED_PAD src0_sel:DWORD src1_sel:BYTE_0
	v_sub_nc_u16 v16, v25, v4
	v_lshrrev_b32_e32 v4, 18, v10
	v_lshlrev_b32_sdwa v14, v0, v14 dst_sel:DWORD dst_unused:UNUSED_PAD src0_sel:DWORD src1_sel:BYTE_0
	global_load_dwordx4 v[39:42], v11, s[8:9] offset:208
	v_lshlrev_b32_sdwa v10, v35, v16 dst_sel:DWORD dst_unused:UNUSED_PAD src0_sel:DWORD src1_sel:WORD_0
	v_mul_lo_u16 v4, 0x41, v4
	global_load_dwordx4 v[43:46], v10, s[8:9] offset:208
	v_sub_nc_u16 v15, v24, v4
	v_lshlrev_b32_sdwa v4, v35, v15 dst_sel:DWORD dst_unused:UNUSED_PAD src0_sel:DWORD src1_sel:WORD_0
	global_load_dwordx4 v[47:50], v4, s[8:9] offset:208
	ds_read_u16 v35, v28 offset:1300
	ds_read_u16 v36, v28 offset:1950
	;; [unrolled: 1-line block ×6, first 2 shown]
	ds_read_u16 v13, v27
	ds_read_u16 v12, v28 offset:130
	ds_read_u16 v10, v28 offset:260
	ds_read_u16 v4, v28 offset:390
	ds_read_u16 v60, v28 offset:1040
	ds_read_u16 v61, v28 offset:1430
	ds_read_u16 v73, v28 offset:1560
	ds_read_u16 v74, v28 offset:1690
	ds_read_u16 v75, v28 offset:2080
	ds_read_u16 v76, v28 offset:2210
	ds_read_u16 v77, v28 offset:2340
	ds_read_u16 v78, v28 offset:2730
	ds_read_u16 v79, v28 offset:2860
	ds_read_u16 v80, v28 offset:2990
	ds_read_u16 v11, v28 offset:520
	ds_read_u16 v81, v28 offset:1820
	ds_read_u16 v82, v28 offset:1170
	ds_read_u16 v83, v28 offset:2470
	ds_read_u16 v84, v28 offset:3120
	s_waitcnt vmcnt(0) lgkmcnt(0)
	s_barrier
	buffer_gl0_inv
	v_mul_f16_sdwa v38, v37, v30 dst_sel:DWORD dst_unused:UNUSED_PAD src0_sel:DWORD src1_sel:WORD_1
	v_mul_f16_sdwa v85, v17, v30 dst_sel:DWORD dst_unused:UNUSED_PAD src0_sel:DWORD src1_sel:WORD_1
	;; [unrolled: 1-line block ×25, first 2 shown]
	v_fma_f16 v109, v17, v30, -v38
	v_mul_f16_sdwa v110, v74, v44 dst_sel:DWORD dst_unused:UNUSED_PAD src0_sel:DWORD src1_sel:WORD_1
	v_fmac_f16_e32 v85, v37, v30
	v_fma_f16 v67, v67, v31, -v86
	v_fmac_f16_e32 v87, v35, v31
	v_fma_f16 v64, v64, v32, -v88
	;; [unrolled: 2-line block ×3, first 2 shown]
	v_mul_f16_sdwa v36, v82, v47 dst_sel:DWORD dst_unused:UNUSED_PAD src0_sel:DWORD src1_sel:WORD_1
	v_fmac_f16_e32 v91, v52, v33
	v_mul_f16_sdwa v17, v68, v47 dst_sel:DWORD dst_unused:UNUSED_PAD src0_sel:DWORD src1_sel:WORD_1
	v_fma_f16 v52, v19, v30, -v92
	v_mul_f16_sdwa v90, v81, v48 dst_sel:DWORD dst_unused:UNUSED_PAD src0_sel:DWORD src1_sel:WORD_1
	v_mul_f16_sdwa v19, v65, v48 dst_sel:DWORD dst_unused:UNUSED_PAD src0_sel:DWORD src1_sel:WORD_1
	v_mul_f16_sdwa v97, v18, v32 dst_sel:DWORD dst_unused:UNUSED_PAD src0_sel:DWORD src1_sel:WORD_1
	v_mul_f16_sdwa v37, v57, v44 dst_sel:DWORD dst_unused:UNUSED_PAD src0_sel:DWORD src1_sel:WORD_1
	v_mul_f16_sdwa v86, v77, v45 dst_sel:DWORD dst_unused:UNUSED_PAD src0_sel:DWORD src1_sel:WORD_1
	v_mul_f16_sdwa v38, v59, v45 dst_sel:DWORD dst_unused:UNUSED_PAD src0_sel:DWORD src1_sel:WORD_1
	v_mul_f16_sdwa v35, v80, v46 dst_sel:DWORD dst_unused:UNUSED_PAD src0_sel:DWORD src1_sel:WORD_1
	v_mul_f16_sdwa v88, v63, v46 dst_sel:DWORD dst_unused:UNUSED_PAD src0_sel:DWORD src1_sel:WORD_1
	v_fmac_f16_e32 v93, v53, v30
	v_fma_f16 v53, v66, v31, -v94
	v_mul_f16_sdwa v66, v83, v49 dst_sel:DWORD dst_unused:UNUSED_PAD src0_sel:DWORD src1_sel:WORD_1
	v_fmac_f16_e32 v95, v61, v31
	v_fma_f16 v61, v18, v32, -v96
	v_mul_f16_sdwa v92, v84, v50 dst_sel:DWORD dst_unused:UNUSED_PAD src0_sel:DWORD src1_sel:WORD_1
	v_fma_f16 v69, v69, v33, -v98
	v_fmac_f16_e32 v99, v78, v33
	v_fma_f16 v51, v51, v39, -v100
	v_fmac_f16_e32 v101, v56, v39
	v_fma_f16 v39, v55, v40, -v102
	v_fmac_f16_e32 v103, v73, v40
	v_fma_f16 v40, v58, v41, -v104
	v_fmac_f16_e32 v105, v76, v41
	v_fma_f16 v41, v62, v42, -v106
	v_fmac_f16_e32 v107, v79, v42
	v_fma_f16 v42, v54, v43, -v108
	v_fmac_f16_e32 v34, v60, v43
	v_fma_f16 v43, v57, v44, -v110
	v_fma_f16 v33, v68, v47, -v36
	v_fmac_f16_e32 v17, v82, v47
	v_fma_f16 v31, v65, v48, -v90
	v_fmac_f16_e32 v19, v81, v48
	v_add_f16_e32 v36, v9, v109
	v_sub_f16_e32 v47, v109, v67
	v_sub_f16_e32 v48, v70, v64
	v_add_f16_e32 v57, v13, v85
	v_add_f16_e32 v58, v87, v89
	v_add_f16_e32 v65, v85, v91
	v_fmac_f16_e32 v97, v75, v32
	v_mul_f16_sdwa v18, v72, v50 dst_sel:DWORD dst_unused:UNUSED_PAD src0_sel:DWORD src1_sel:WORD_1
	v_fmac_f16_e32 v37, v74, v44
	v_fma_f16 v44, v59, v45, -v86
	v_fmac_f16_e32 v38, v77, v45
	v_fma_f16 v45, v63, v46, -v35
	;; [unrolled: 2-line block ×3, first 2 shown]
	v_fma_f16 v35, v72, v50, -v92
	v_add_f16_e32 v46, v67, v64
	v_add_f16_e32 v54, v109, v70
	v_sub_f16_e32 v55, v67, v109
	v_sub_f16_e32 v56, v64, v70
	v_sub_f16_e32 v59, v109, v70
	v_sub_f16_e32 v60, v67, v64
	v_sub_f16_e32 v66, v87, v85
	v_sub_f16_e32 v68, v89, v91
	v_add_f16_e32 v72, v53, v61
	v_add_f16_e32 v77, v52, v69
	;; [unrolled: 1-line block ×5, first 2 shown]
	v_fma_f16 v36, -0.5, v58, v13
	v_fmac_f16_e32 v13, -0.5, v65
	v_mul_f16_sdwa v30, v71, v49 dst_sel:DWORD dst_unused:UNUSED_PAD src0_sel:DWORD src1_sel:WORD_1
	v_fmac_f16_e32 v18, v84, v50
	v_sub_f16_e32 v50, v87, v89
	v_sub_f16_e32 v62, v85, v87
	;; [unrolled: 1-line block ×3, first 2 shown]
	v_add_f16_e32 v71, v8, v52
	v_sub_f16_e32 v74, v95, v97
	v_fma_f16 v46, -0.5, v46, v9
	v_fmac_f16_e32 v9, -0.5, v54
	v_add_f16_e32 v54, v55, v56
	v_add_f16_e32 v56, v66, v68
	v_fma_f16 v58, -0.5, v72, v8
	v_fmac_f16_e32 v8, -0.5, v77
	v_add_f16_e32 v66, v47, v89
	v_fmamk_f16 v47, v59, 0xbb9c, v36
	v_fmac_f16_e32 v36, 0x3b9c, v59
	v_fmamk_f16 v48, v60, 0x3b9c, v13
	v_fmac_f16_e32 v13, 0xbb9c, v60
	v_fmac_f16_e32 v30, v83, v49
	v_sub_f16_e32 v49, v85, v91
	v_sub_f16_e32 v73, v93, v99
	;; [unrolled: 1-line block ×4, first 2 shown]
	v_add_f16_e32 v55, v62, v63
	v_add_f16_e32 v57, v71, v53
	v_fmamk_f16 v65, v50, 0xbb9c, v9
	v_fmac_f16_e32 v9, 0x3b9c, v50
	v_fmamk_f16 v68, v74, 0xbb9c, v8
	v_fmac_f16_e32 v47, 0xb8b4, v60
	v_fmac_f16_e32 v36, 0x38b4, v60
	v_fmac_f16_e32 v48, 0xb8b4, v59
	v_fmac_f16_e32 v13, 0x38b4, v59
	v_fmac_f16_e32 v8, 0x3b9c, v74
	v_sub_f16_e32 v75, v52, v53
	v_sub_f16_e32 v76, v69, v61
	v_add_f16_e32 v63, v67, v64
	v_add_f16_e32 v57, v57, v61
	v_fmamk_f16 v67, v73, 0x3b9c, v58
	v_fmac_f16_e32 v58, 0xbb9c, v73
	v_fmac_f16_e32 v65, 0x38b4, v49
	;; [unrolled: 1-line block ×7, first 2 shown]
	v_add_f16_e32 v55, v95, v97
	v_fmac_f16_e32 v68, 0x38b4, v73
	v_add_f16_e32 v56, v78, v79
	v_fmac_f16_e32 v8, 0xb8b4, v73
	v_add_f16_e32 v59, v93, v99
	v_sub_f16_e32 v53, v53, v61
	v_sub_f16_e32 v60, v93, v95
	;; [unrolled: 1-line block ×3, first 2 shown]
	v_add_f16_e32 v62, v75, v76
	v_fmamk_f16 v64, v49, 0x3b9c, v46
	v_fmac_f16_e32 v46, 0xbb9c, v49
	v_fmac_f16_e32 v67, 0x38b4, v74
	;; [unrolled: 1-line block ×5, first 2 shown]
	v_add_f16_e32 v54, v12, v93
	v_fma_f16 v55, -0.5, v55, v12
	v_sub_f16_e32 v52, v52, v69
	v_fmac_f16_e32 v68, 0x34f2, v56
	v_fmac_f16_e32 v8, 0x34f2, v56
	v_fmac_f16_e32 v12, -0.5, v59
	v_add_f16_e32 v56, v60, v61
	v_sub_f16_e32 v60, v95, v93
	v_sub_f16_e32 v61, v97, v99
	v_fmac_f16_e32 v64, 0x38b4, v50
	v_fmac_f16_e32 v46, 0xb8b4, v50
	v_add_f16_e32 v50, v57, v69
	v_fmac_f16_e32 v67, 0x34f2, v62
	v_fmac_f16_e32 v58, 0x34f2, v62
	v_fmamk_f16 v57, v52, 0xbb9c, v55
	v_fmac_f16_e32 v55, 0x3b9c, v52
	v_fmamk_f16 v59, v53, 0x3b9c, v12
	v_add_f16_e32 v62, v39, v40
	v_add_f16_e32 v60, v60, v61
	;; [unrolled: 1-line block ×3, first 2 shown]
	v_fmac_f16_e32 v12, 0xbb9c, v53
	v_add_f16_e32 v71, v51, v41
	v_add_f16_e32 v63, v63, v70
	;; [unrolled: 1-line block ×3, first 2 shown]
	v_fmac_f16_e32 v57, 0xb8b4, v53
	v_fmac_f16_e32 v55, 0x38b4, v53
	;; [unrolled: 1-line block ×3, first 2 shown]
	v_fma_f16 v62, -0.5, v62, v2
	v_sub_f16_e32 v66, v101, v107
	v_add_f16_e32 v53, v61, v39
	v_sub_f16_e32 v61, v103, v105
	v_sub_f16_e32 v69, v51, v39
	;; [unrolled: 1-line block ×3, first 2 shown]
	v_fmac_f16_e32 v12, 0x38b4, v52
	v_fmac_f16_e32 v2, -0.5, v71
	v_fmac_f16_e32 v57, 0x34f2, v56
	v_fmac_f16_e32 v55, 0x34f2, v56
	;; [unrolled: 1-line block ×3, first 2 shown]
	v_fmamk_f16 v56, v66, 0x3b9c, v62
	v_add_f16_e32 v52, v53, v40
	v_add_f16_e32 v53, v69, v70
	v_fmac_f16_e32 v12, 0x34f2, v60
	v_fmac_f16_e32 v62, 0xbb9c, v66
	v_fmamk_f16 v60, v61, 0xbb9c, v2
	v_sub_f16_e32 v69, v39, v51
	v_sub_f16_e32 v70, v40, v41
	v_add_f16_e32 v71, v10, v101
	v_fmac_f16_e32 v2, 0x3b9c, v61
	v_fmac_f16_e32 v56, 0x38b4, v61
	;; [unrolled: 1-line block ×3, first 2 shown]
	v_add_f16_e32 v72, v103, v105
	v_fmac_f16_e32 v60, 0x38b4, v66
	v_add_f16_e32 v69, v69, v70
	v_add_f16_e32 v61, v71, v103
	v_fmac_f16_e32 v2, 0xb8b4, v66
	v_sub_f16_e32 v39, v39, v40
	v_sub_f16_e32 v40, v101, v103
	;; [unrolled: 1-line block ×3, first 2 shown]
	v_add_f16_e32 v52, v52, v41
	v_fma_f16 v70, -0.5, v72, v10
	v_sub_f16_e32 v41, v51, v41
	v_fmac_f16_e32 v60, 0x34f2, v69
	v_add_f16_e32 v51, v61, v105
	v_add_f16_e32 v61, v101, v107
	v_fmac_f16_e32 v2, 0x34f2, v69
	v_add_f16_e32 v40, v40, v66
	v_sub_f16_e32 v66, v103, v101
	v_sub_f16_e32 v69, v105, v107
	v_fmac_f16_e32 v56, 0x34f2, v53
	v_fmac_f16_e32 v62, 0x34f2, v53
	v_fmamk_f16 v53, v41, 0xbb9c, v70
	v_fmac_f16_e32 v10, -0.5, v61
	v_fmac_f16_e32 v70, 0x3b9c, v41
	v_add_f16_e32 v71, v43, v44
	v_add_f16_e32 v66, v66, v69
	;; [unrolled: 1-line block ×3, first 2 shown]
	v_fmac_f16_e32 v53, 0xb8b4, v39
	v_fmamk_f16 v61, v39, 0x3b9c, v10
	v_fmac_f16_e32 v70, 0x38b4, v39
	v_fma_f16 v71, -0.5, v71, v1
	v_sub_f16_e32 v72, v34, v88
	v_fmac_f16_e32 v10, 0xbb9c, v39
	v_add_f16_e32 v39, v69, v43
	v_sub_f16_e32 v73, v42, v43
	v_sub_f16_e32 v74, v45, v44
	v_add_f16_e32 v75, v42, v45
	v_fmac_f16_e32 v53, 0x34f2, v40
	v_fmac_f16_e32 v61, 0xb8b4, v41
	;; [unrolled: 1-line block ×3, first 2 shown]
	v_fmamk_f16 v40, v72, 0x3b9c, v71
	v_sub_f16_e32 v69, v37, v38
	v_fmac_f16_e32 v10, 0x38b4, v41
	v_add_f16_e32 v39, v39, v44
	v_add_f16_e32 v41, v73, v74
	v_fmac_f16_e32 v1, -0.5, v75
	v_fmac_f16_e32 v71, 0xbb9c, v72
	v_sub_f16_e32 v73, v43, v42
	v_sub_f16_e32 v74, v44, v45
	v_add_f16_e32 v75, v4, v34
	v_add_f16_e32 v76, v37, v38
	v_fmac_f16_e32 v61, 0x34f2, v66
	v_fmac_f16_e32 v40, 0x38b4, v69
	;; [unrolled: 1-line block ×3, first 2 shown]
	v_add_f16_e32 v39, v39, v45
	v_fmamk_f16 v66, v69, 0xbb9c, v1
	v_fmac_f16_e32 v71, 0xb8b4, v69
	v_add_f16_e32 v73, v73, v74
	v_fmac_f16_e32 v1, 0x3b9c, v69
	v_add_f16_e32 v69, v75, v37
	v_fma_f16 v74, -0.5, v76, v4
	v_sub_f16_e32 v42, v42, v45
	v_add_f16_e32 v45, v34, v88
	v_sub_f16_e32 v43, v43, v44
	v_sub_f16_e32 v44, v34, v37
	;; [unrolled: 1-line block ×4, first 2 shown]
	v_fmac_f16_e32 v40, 0x34f2, v41
	v_fmac_f16_e32 v66, 0x38b4, v72
	;; [unrolled: 1-line block ×4, first 2 shown]
	v_add_f16_e32 v41, v69, v38
	v_fmamk_f16 v69, v42, 0xbb9c, v74
	v_sub_f16_e32 v72, v88, v38
	v_fmac_f16_e32 v4, -0.5, v45
	v_fmac_f16_e32 v74, 0x3b9c, v42
	v_add_f16_e32 v38, v31, v32
	v_add_f16_e32 v34, v34, v37
	;; [unrolled: 1-line block ×3, first 2 shown]
	v_fmac_f16_e32 v66, 0x34f2, v73
	v_fmac_f16_e32 v1, 0x34f2, v73
	v_add_f16_e32 v73, v41, v88
	v_fmac_f16_e32 v69, 0xb8b4, v43
	v_add_f16_e32 v41, v44, v72
	v_fmamk_f16 v72, v43, 0x3b9c, v4
	v_fmac_f16_e32 v74, 0x38b4, v43
	v_fmac_f16_e32 v4, 0xbb9c, v43
	v_fma_f16 v38, -0.5, v38, v3
	v_sub_f16_e32 v43, v17, v18
	v_add_f16_e32 v37, v37, v31
	v_add_f16_e32 v75, v33, v35
	v_fmac_f16_e32 v69, 0x34f2, v41
	v_fmac_f16_e32 v72, 0xb8b4, v42
	;; [unrolled: 1-line block ×4, first 2 shown]
	v_fmamk_f16 v41, v43, 0x3b9c, v38
	v_sub_f16_e32 v42, v19, v30
	v_sub_f16_e32 v44, v33, v31
	;; [unrolled: 1-line block ×3, first 2 shown]
	v_fmac_f16_e32 v38, 0xbb9c, v43
	v_add_f16_e32 v37, v37, v32
	v_fmac_f16_e32 v3, -0.5, v75
	v_fmac_f16_e32 v72, 0x34f2, v34
	v_fmac_f16_e32 v41, 0x38b4, v42
	v_add_f16_e32 v44, v44, v45
	v_fmac_f16_e32 v38, 0xb8b4, v42
	v_fmac_f16_e32 v4, 0x34f2, v34
	v_add_f16_e32 v34, v37, v35
	v_fmamk_f16 v37, v42, 0xbb9c, v3
	v_fmac_f16_e32 v3, 0x3b9c, v42
	v_fmac_f16_e32 v41, 0x34f2, v44
	;; [unrolled: 1-line block ×3, first 2 shown]
	v_add_f16_e32 v44, v19, v30
	v_sub_f16_e32 v45, v31, v33
	v_sub_f16_e32 v75, v32, v35
	v_add_f16_e32 v42, v11, v17
	v_fmac_f16_e32 v37, 0x38b4, v43
	v_fmac_f16_e32 v3, 0xb8b4, v43
	v_add_f16_e32 v43, v17, v18
	v_fma_f16 v76, -0.5, v44, v11
	v_sub_f16_e32 v33, v33, v35
	v_add_f16_e32 v35, v45, v75
	v_add_f16_e32 v42, v42, v19
	v_sub_f16_e32 v31, v31, v32
	v_fmac_f16_e32 v11, -0.5, v43
	v_fmac_f16_e32 v64, 0x34f2, v80
	v_fmac_f16_e32 v46, 0x34f2, v80
	v_fmamk_f16 v75, v33, 0xbb9c, v76
	v_fmac_f16_e32 v37, 0x34f2, v35
	v_fmac_f16_e32 v3, 0x34f2, v35
	v_add_f16_e32 v32, v42, v30
	v_sub_f16_e32 v35, v17, v19
	v_sub_f16_e32 v42, v18, v30
	v_fmac_f16_e32 v76, 0x3b9c, v33
	v_fmamk_f16 v77, v31, 0x3b9c, v11
	v_sub_f16_e32 v17, v19, v17
	v_sub_f16_e32 v19, v30, v18
	v_fmac_f16_e32 v11, 0xbb9c, v31
	ds_write_b16 v28, v63
	ds_write_b16 v28, v64 offset:130
	ds_write_b16 v28, v65 offset:260
	;; [unrolled: 1-line block ×6, first 2 shown]
	v_lshlrev_b32_sdwa v9, v0, v16 dst_sel:DWORD dst_unused:UNUSED_PAD src0_sel:DWORD src1_sel:WORD_0
	v_add3_u32 v50, 0, v14, v29
	v_lshlrev_b32_sdwa v0, v0, v15 dst_sel:DWORD dst_unused:UNUSED_PAD src0_sel:DWORD src1_sel:WORD_0
	v_fmac_f16_e32 v75, 0xb8b4, v31
	v_add_f16_e32 v30, v35, v42
	v_fmac_f16_e32 v76, 0x38b4, v31
	v_fmac_f16_e32 v77, 0xb8b4, v33
	v_add_f16_e32 v17, v17, v19
	v_fmac_f16_e32 v11, 0x38b4, v33
	ds_write_b16 v28, v68 offset:910
	ds_write_b16 v28, v8 offset:1040
	;; [unrolled: 1-line block ×5, first 2 shown]
	v_add3_u32 v52, 0, v9, v29
	v_add3_u32 v0, 0, v0, v29
	v_add_f16_e32 v78, v32, v18
	v_fmac_f16_e32 v75, 0x34f2, v30
	v_fmac_f16_e32 v76, 0x34f2, v30
	;; [unrolled: 1-line block ×4, first 2 shown]
	ds_write_b16 v50, v60 offset:1560
	ds_write_b16 v50, v2 offset:1690
	;; [unrolled: 1-line block ×13, first 2 shown]
	s_waitcnt lgkmcnt(0)
	s_barrier
	buffer_gl0_inv
	ds_read_u16 v29, v28 offset:910
	ds_read_u16 v9, v27
	ds_read_u16 v8, v28 offset:130
	ds_read_u16 v14, v28 offset:260
	;; [unrolled: 1-line block ×23, first 2 shown]
	v_add_f16_e32 v54, v54, v95
	v_add_f16_e32 v51, v51, v107
	s_waitcnt lgkmcnt(0)
	s_barrier
	buffer_gl0_inv
	v_add_f16_e32 v54, v54, v97
	v_add_f16_e32 v54, v54, v99
	ds_write_b16 v28, v49
	ds_write_b16 v28, v47 offset:130
	ds_write_b16 v28, v48 offset:260
	;; [unrolled: 1-line block ×24, first 2 shown]
	s_waitcnt lgkmcnt(0)
	s_barrier
	buffer_gl0_inv
	s_and_saveexec_b32 s0, vcc_lo
	s_cbranch_execz .LBB0_19
; %bb.18:
	v_lshlrev_b32_e32 v4, 2, v24
	global_load_dwordx4 v[10:13], v[6:7], off offset:1248
	v_lshlrev_b64 v[0:1], 2, v[4:5]
	v_lshlrev_b32_e32 v4, 2, v25
	v_lshlrev_b64 v[6:7], 2, v[4:5]
	v_add_co_u32 v0, vcc_lo, s8, v0
	v_add_co_ci_u32_e32 v1, vcc_lo, s9, v1, vcc_lo
	v_lshlrev_b32_e32 v4, 2, v26
	v_add_co_u32 v6, vcc_lo, s8, v6
	v_add_co_ci_u32_e32 v7, vcc_lo, s9, v7, vcc_lo
	s_clause 0x1
	global_load_dwordx4 v[0:3], v[0:1], off offset:1248
	global_load_dwordx4 v[47:50], v[6:7], off offset:1248
	v_lshlrev_b64 v[6:7], 2, v[4:5]
	v_lshlrev_b32_e32 v4, 2, v23
	v_lshlrev_b64 v[4:5], 2, v[4:5]
	v_add_co_u32 v6, vcc_lo, s8, v6
	v_add_co_ci_u32_e32 v7, vcc_lo, s9, v7, vcc_lo
	v_add_co_u32 v4, vcc_lo, s8, v4
	global_load_dwordx4 v[51:54], v[6:7], off offset:1248
	v_add_co_ci_u32_e32 v5, vcc_lo, s9, v5, vcc_lo
	global_load_dwordx4 v[55:58], v[4:5], off offset:1248
	ds_read_u16 v4, v28 offset:2470
	ds_read_u16 v5, v28 offset:3120
	;; [unrolled: 1-line block ×24, first 2 shown]
	ds_read_u16 v78, v27
	s_waitcnt vmcnt(4)
	v_mul_f16_sdwa v85, v39, v10 dst_sel:DWORD dst_unused:UNUSED_PAD src0_sel:DWORD src1_sel:WORD_1
	v_mul_f16_sdwa v86, v41, v11 dst_sel:DWORD dst_unused:UNUSED_PAD src0_sel:DWORD src1_sel:WORD_1
	;; [unrolled: 1-line block ×4, first 2 shown]
	s_waitcnt lgkmcnt(17)
	v_mul_f16_sdwa v89, v62, v11 dst_sel:DWORD dst_unused:UNUSED_PAD src0_sel:DWORD src1_sel:WORD_1
	v_mul_f16_sdwa v90, v6, v12 dst_sel:DWORD dst_unused:UNUSED_PAD src0_sel:DWORD src1_sel:WORD_1
	s_waitcnt lgkmcnt(5)
	v_mul_f16_sdwa v91, v74, v10 dst_sel:DWORD dst_unused:UNUSED_PAD src0_sel:DWORD src1_sel:WORD_1
	v_mul_f16_sdwa v92, v68, v13 dst_sel:DWORD dst_unused:UNUSED_PAD src0_sel:DWORD src1_sel:WORD_1
	v_fmac_f16_e32 v85, v74, v10
	v_fmac_f16_e32 v86, v62, v11
	;; [unrolled: 1-line block ×4, first 2 shown]
	v_fma_f16 v41, v41, v11, -v89
	v_fma_f16 v40, v40, v12, -v90
	;; [unrolled: 1-line block ×4, first 2 shown]
	v_sub_f16_e32 v94, v87, v88
	v_add_f16_e32 v97, v86, v88
	v_add_f16_e32 v100, v41, v40
	v_sub_f16_e32 v98, v39, v41
	s_waitcnt vmcnt(3)
	v_mul_f16_sdwa v27, v43, v1 dst_sel:DWORD dst_unused:UNUSED_PAD src0_sel:DWORD src1_sel:WORD_1
	v_mul_f16_sdwa v28, v44, v0 dst_sel:DWORD dst_unused:UNUSED_PAD src0_sel:DWORD src1_sel:WORD_1
	;; [unrolled: 1-line block ×8, first 2 shown]
	v_fmac_f16_e32 v27, v7, v1
	v_fmac_f16_e32 v28, v63, v0
	;; [unrolled: 1-line block ×4, first 2 shown]
	v_fma_f16 v0, v44, v0, -v81
	v_fma_f16 v44, v46, v3, -v82
	;; [unrolled: 1-line block ×4, first 2 shown]
	s_waitcnt vmcnt(2)
	v_mul_f16_sdwa v5, v34, v47 dst_sel:DWORD dst_unused:UNUSED_PAD src0_sel:DWORD src1_sel:WORD_1
	v_mul_f16_sdwa v45, v35, v48 dst_sel:DWORD dst_unused:UNUSED_PAD src0_sel:DWORD src1_sel:WORD_1
	v_mul_f16_sdwa v46, v38, v50 dst_sel:DWORD dst_unused:UNUSED_PAD src0_sel:DWORD src1_sel:WORD_1
	v_mul_f16_sdwa v63, v37, v49 dst_sel:DWORD dst_unused:UNUSED_PAD src0_sel:DWORD src1_sel:WORD_1
	v_mul_f16_sdwa v1, v59, v48 dst_sel:DWORD dst_unused:UNUSED_PAD src0_sel:DWORD src1_sel:WORD_1
	v_mul_f16_sdwa v2, v69, v49 dst_sel:DWORD dst_unused:UNUSED_PAD src0_sel:DWORD src1_sel:WORD_1
	v_mul_f16_sdwa v3, v64, v47 dst_sel:DWORD dst_unused:UNUSED_PAD src0_sel:DWORD src1_sel:WORD_1
	v_mul_f16_sdwa v7, v65, v50 dst_sel:DWORD dst_unused:UNUSED_PAD src0_sel:DWORD src1_sel:WORD_1
	v_sub_f16_e32 v6, v27, v28
	v_sub_f16_e32 v10, v79, v80
	v_add_f16_e32 v12, v28, v80
	v_sub_f16_e32 v62, v28, v27
	v_sub_f16_e32 v68, v80, v79
	v_add_f16_e32 v74, v27, v79
	s_waitcnt lgkmcnt(4)
	v_add_f16_e32 v81, v28, v75
	v_sub_f16_e32 v82, v4, v0
	v_sub_f16_e32 v83, v43, v44
	;; [unrolled: 1-line block ×5, first 2 shown]
	v_add_f16_e32 v92, v4, v43
	v_add_f16_e32 v93, v33, v0
	v_fmac_f16_e32 v5, v64, v47
	v_fmac_f16_e32 v45, v59, v48
	;; [unrolled: 1-line block ×4, first 2 shown]
	v_fma_f16 v35, v35, v48, -v1
	v_fma_f16 v37, v37, v49, -v2
	;; [unrolled: 1-line block ×4, first 2 shown]
	s_waitcnt vmcnt(1)
	v_mul_f16_sdwa v47, v29, v51 dst_sel:DWORD dst_unused:UNUSED_PAD src0_sel:DWORD src1_sel:WORD_1
	v_mul_f16_sdwa v48, v30, v52 dst_sel:DWORD dst_unused:UNUSED_PAD src0_sel:DWORD src1_sel:WORD_1
	;; [unrolled: 1-line block ×8, first 2 shown]
	v_sub_f16_e32 v11, v0, v44
	v_sub_f16_e32 v13, v4, v43
	v_add_f16_e32 v84, v0, v44
	v_sub_f16_e32 v89, v27, v79
	v_sub_f16_e32 v69, v85, v86
	;; [unrolled: 1-line block ×3, first 2 shown]
	v_add_f16_e32 v105, v85, v87
	v_add_f16_e32 v107, v6, v10
	v_fma_f16 v0, -0.5, v12, v75
	v_add_f16_e32 v62, v62, v68
	v_fma_f16 v2, -0.5, v74, v75
	v_add_f16_e32 v6, v27, v81
	v_add_f16_e32 v68, v82, v83
	;; [unrolled: 1-line block ×3, first 2 shown]
	v_fma_f16 v3, -0.5, v92, v33
	v_add_f16_e32 v10, v4, v93
	v_sub_f16_e32 v12, v5, v45
	v_sub_f16_e32 v27, v46, v63
	;; [unrolled: 1-line block ×3, first 2 shown]
	v_add_f16_e32 v28, v45, v63
	v_sub_f16_e32 v81, v34, v35
	v_sub_f16_e32 v82, v38, v37
	v_add_f16_e32 v83, v35, v37
	v_sub_f16_e32 v92, v45, v5
	v_sub_f16_e32 v93, v63, v46
	v_add_f16_e32 v108, v5, v46
	v_fmac_f16_e32 v47, v72, v51
	v_sub_f16_e32 v72, v35, v34
	v_fmac_f16_e32 v48, v60, v52
	v_fmac_f16_e32 v49, v66, v54
	v_add_f16_e32 v66, v34, v38
	s_waitcnt lgkmcnt(3)
	v_add_f16_e32 v109, v5, v76
	v_add_f16_e32 v34, v19, v34
	v_fmac_f16_e32 v50, v70, v53
	v_fma_f16 v30, v30, v52, -v7
	v_fma_f16 v31, v31, v53, -v59
	;; [unrolled: 1-line block ×4, first 2 shown]
	s_waitcnt vmcnt(0)
	v_mul_f16_sdwa v52, v16, v55 dst_sel:DWORD dst_unused:UNUSED_PAD src0_sel:DWORD src1_sel:WORD_1
	v_mul_f16_sdwa v53, v17, v56 dst_sel:DWORD dst_unused:UNUSED_PAD src0_sel:DWORD src1_sel:WORD_1
	v_mul_f16_sdwa v54, v18, v58 dst_sel:DWORD dst_unused:UNUSED_PAD src0_sel:DWORD src1_sel:WORD_1
	v_mul_f16_sdwa v59, v15, v57 dst_sel:DWORD dst_unused:UNUSED_PAD src0_sel:DWORD src1_sel:WORD_1
	v_mul_f16_sdwa v64, v73, v55 dst_sel:DWORD dst_unused:UNUSED_PAD src0_sel:DWORD src1_sel:WORD_1
	v_mul_f16_sdwa v65, v67, v58 dst_sel:DWORD dst_unused:UNUSED_PAD src0_sel:DWORD src1_sel:WORD_1
	v_mul_f16_sdwa v70, v61, v56 dst_sel:DWORD dst_unused:UNUSED_PAD src0_sel:DWORD src1_sel:WORD_1
	v_mul_f16_sdwa v110, v71, v57 dst_sel:DWORD dst_unused:UNUSED_PAD src0_sel:DWORD src1_sel:WORD_1
	v_fma_f16 v1, -0.5, v84, v33
	v_sub_f16_e32 v33, v35, v37
	v_sub_f16_e32 v84, v5, v46
	;; [unrolled: 1-line block ×4, first 2 shown]
	v_add_f16_e32 v69, v69, v94
	s_waitcnt lgkmcnt(0)
	v_fma_f16 v94, -0.5, v97, v78
	v_add_f16_e32 v97, v98, v99
	v_fma_f16 v98, -0.5, v100, v9
	v_fma_f16 v99, -0.5, v105, v78
	v_fmamk_f16 v5, v13, 0xbb9c, v0
	v_fmac_f16_e32 v0, 0x3b9c, v13
	v_add_f16_e32 v79, v79, v6
	v_fmamk_f16 v6, v90, 0xbb9c, v3
	v_fmac_f16_e32 v3, 0x3b9c, v90
	v_add_f16_e32 v43, v10, v43
	v_add_f16_e32 v100, v12, v27
	v_fma_f16 v28, -0.5, v28, v76
	v_add_f16_e32 v81, v81, v82
	v_fma_f16 v29, -0.5, v83, v19
	;; [unrolled: 2-line block ×3, first 2 shown]
	v_add_f16_e32 v45, v45, v109
	v_add_f16_e32 v34, v34, v35
	v_sub_f16_e32 v35, v47, v48
	v_sub_f16_e32 v76, v51, v32
	v_add_f16_e32 v83, v48, v50
	v_sub_f16_e32 v92, v51, v30
	v_sub_f16_e32 v93, v32, v31
	v_add_f16_e32 v105, v30, v31
	v_sub_f16_e32 v108, v47, v49
	v_fmac_f16_e32 v52, v73, v55
	v_fmac_f16_e32 v53, v61, v56
	v_sub_f16_e32 v61, v48, v47
	v_fmac_f16_e32 v54, v67, v58
	v_sub_f16_e32 v67, v50, v49
	v_fmac_f16_e32 v59, v71, v57
	v_add_f16_e32 v71, v47, v49
	v_fma_f16 v55, v16, v55, -v64
	v_sub_f16_e32 v64, v30, v51
	v_fma_f16 v18, v18, v58, -v65
	v_sub_f16_e32 v58, v31, v32
	v_fma_f16 v17, v17, v56, -v70
	v_add_f16_e32 v56, v51, v32
	v_add_f16_e32 v47, v47, v77
	;; [unrolled: 1-line block ×3, first 2 shown]
	v_fma_f16 v57, v15, v57, -v110
	v_fmamk_f16 v4, v11, 0x3b9c, v2
	v_fmac_f16_e32 v2, 0xbb9c, v11
	v_fmamk_f16 v7, v89, 0x3b9c, v1
	v_fmac_f16_e32 v1, 0xbb9c, v89
	v_add_f16_e32 v60, v72, v60
	v_sub_f16_e32 v72, v30, v31
	v_sub_f16_e32 v73, v48, v50
	v_fmac_f16_e32 v5, 0x38b4, v11
	v_fmac_f16_e32 v0, 0xb8b4, v11
	;; [unrolled: 1-line block ×4, first 2 shown]
	v_add_f16_e32 v11, v43, v44
	v_add_f16_e32 v43, v63, v45
	;; [unrolled: 1-line block ×3, first 2 shown]
	v_fma_f16 v44, -0.5, v83, v77
	v_add_f16_e32 v37, v92, v93
	v_fma_f16 v45, -0.5, v105, v14
	v_add_f16_e32 v61, v61, v67
	;; [unrolled: 2-line block ×4, first 2 shown]
	v_add_f16_e32 v30, v51, v30
	v_sub_f16_e32 v47, v52, v53
	v_sub_f16_e32 v48, v54, v59
	;; [unrolled: 1-line block ×4, first 2 shown]
	v_add_f16_e32 v77, v17, v57
	v_add_f16_e32 v89, v8, v55
	v_sub_f16_e32 v93, v17, v55
	v_add_f16_e32 v55, v55, v18
	v_fma_f16 v19, -0.5, v66, v19
	v_fmac_f16_e32 v4, 0x38b4, v13
	v_fmac_f16_e32 v2, 0xb8b4, v13
	v_add_f16_e32 v10, v80, v79
	v_sub_f16_e32 v80, v53, v59
	v_add_f16_e32 v30, v30, v31
	v_add_f16_e32 v31, v47, v48
	v_fma_f16 v48, -0.5, v77, v8
	v_fmac_f16_e32 v8, -0.5, v55
	v_sub_f16_e32 v66, v49, v50
	v_fmamk_f16 v16, v91, 0x3b9c, v19
	v_fmac_f16_e32 v19, 0xbb9c, v91
	v_add_f16_e32 v51, v53, v59
	v_sub_f16_e32 v79, v52, v54
	v_fmac_f16_e32 v4, 0x34f2, v62
	v_fmac_f16_e32 v2, 0x34f2, v62
	v_sub_f16_e32 v62, v57, v18
	v_fmamk_f16 v55, v80, 0x3b9c, v8
	v_fmac_f16_e32 v8, 0xbb9c, v80
	v_add_f16_e32 v106, v39, v42
	v_fmamk_f16 v13, v84, 0xbb9c, v29
	v_fmac_f16_e32 v29, 0x3b9c, v84
	v_add_f16_e32 v35, v35, v66
	v_sub_f16_e32 v66, v17, v57
	v_fmac_f16_e32 v16, 0xb8b4, v84
	v_fmac_f16_e32 v19, 0x38b4, v84
	v_fmamk_f16 v84, v73, 0x3b9c, v56
	v_add_f16_e32 v14, v50, v14
	v_fmac_f16_e32 v56, 0xbb9c, v73
	v_fma_f16 v47, -0.5, v51, v36
	v_add_f16_e32 v17, v89, v17
	v_add_f16_e32 v50, v93, v62
	v_fmac_f16_e32 v55, 0xb8b4, v79
	v_fmac_f16_e32 v8, 0x38b4, v79
	v_add_f16_e32 v83, v52, v36
	v_sub_f16_e32 v102, v86, v88
	v_fmac_f16_e32 v84, 0xb8b4, v108
	v_add_f16_e32 v49, v49, v14
	v_fmac_f16_e32 v56, 0x38b4, v108
	v_fmamk_f16 v14, v64, 0xbb9c, v47
	v_add_f16_e32 v17, v17, v57
	v_fmac_f16_e32 v47, 0x3b9c, v64
	v_fmac_f16_e32 v55, 0x34f2, v50
	;; [unrolled: 1-line block ×3, first 2 shown]
	v_fma_f16 v50, -0.5, v106, v9
	v_sub_f16_e32 v95, v41, v40
	v_add_f16_e32 v43, v46, v43
	v_add_f16_e32 v46, v38, v34
	;; [unrolled: 1-line block ×3, first 2 shown]
	v_sub_f16_e32 v101, v85, v87
	v_fmac_f16_e32 v7, 0xb8b4, v90
	v_fmac_f16_e32 v1, 0x38b4, v90
	v_sub_f16_e32 v71, v18, v57
	v_sub_f16_e32 v90, v53, v52
	v_add_f16_e32 v52, v52, v54
	v_fmac_f16_e32 v84, 0x34f2, v58
	v_fmac_f16_e32 v56, 0x34f2, v58
	;; [unrolled: 1-line block ×3, first 2 shown]
	v_add_f16_e32 v57, v18, v17
	v_fmac_f16_e32 v47, 0x38b4, v66
	v_sub_f16_e32 v17, v41, v39
	v_sub_f16_e32 v18, v40, v42
	v_fmamk_f16 v58, v102, 0x3b9c, v50
	v_fmac_f16_e32 v50, 0xbb9c, v102
	v_sub_f16_e32 v96, v39, v42
	v_sub_f16_e32 v103, v86, v85
	v_sub_f16_e32 v104, v88, v87
	v_fmamk_f16 v109, v95, 0xbb9c, v99
	v_add_f16_e32 v51, v32, v30
	v_add_f16_e32 v30, v59, v34
	v_fmac_f16_e32 v99, 0x3b9c, v95
	v_fmamk_f16 v12, v75, 0x3b9c, v28
	v_fmac_f16_e32 v28, 0xbb9c, v75
	v_fmac_f16_e32 v7, 0x34f2, v68
	;; [unrolled: 1-line block ×3, first 2 shown]
	v_fmamk_f16 v68, v76, 0x3b9c, v44
	v_fmac_f16_e32 v44, 0xbb9c, v76
	v_fmac_f16_e32 v36, -0.5, v52
	v_fmamk_f16 v52, v79, 0x3b9c, v48
	v_fmac_f16_e32 v48, 0xbb9c, v79
	v_fmac_f16_e32 v14, 0x34f2, v31
	;; [unrolled: 1-line block ×3, first 2 shown]
	v_add_f16_e32 v31, v17, v18
	v_fmac_f16_e32 v58, 0xb8b4, v101
	v_fmac_f16_e32 v50, 0x38b4, v101
	v_mad_u64_u32 v[17:18], null, s2, v22, 0
	v_sub_f16_e32 v92, v59, v54
	v_add_f16_e32 v54, v54, v30
	v_add_f16_e32 v30, v103, v104
	v_fmac_f16_e32 v109, 0x38b4, v96
	v_fmac_f16_e32 v99, 0xb8b4, v96
	v_add_f16_e32 v32, v85, v78
	v_fmamk_f16 v15, v33, 0xbb9c, v27
	v_fmac_f16_e32 v27, 0x3b9c, v33
	v_fmac_f16_e32 v12, 0x38b4, v33
	;; [unrolled: 1-line block ×3, first 2 shown]
	v_add_f16_e32 v33, v67, v71
	v_fmac_f16_e32 v68, 0x38b4, v72
	v_fmac_f16_e32 v44, 0xb8b4, v72
	;; [unrolled: 1-line block ×6, first 2 shown]
	v_add_f16_e32 v31, v9, v39
	v_fmac_f16_e32 v109, 0x34f2, v30
	v_fmac_f16_e32 v99, 0x34f2, v30
	v_add_f16_e32 v30, v86, v32
	v_mov_b32_e32 v9, v18
	v_fmac_f16_e32 v68, 0x34f2, v35
	v_fmac_f16_e32 v44, 0x34f2, v35
	;; [unrolled: 1-line block ×4, first 2 shown]
	v_add_nc_u32_e32 v35, 0x145, v22
	v_add_f16_e32 v33, v31, v41
	v_add_f16_e32 v18, v88, v30
	v_mad_u64_u32 v[30:31], null, s3, v22, v[9:10]
	v_mad_u64_u32 v[31:32], null, s2, v35, 0
	v_add_f16_e32 v9, v33, v40
	v_add_nc_u32_e32 v40, 0x28a, v22
	v_fmac_f16_e32 v6, 0x34f2, v74
	v_fmac_f16_e32 v3, 0x34f2, v74
	v_fmamk_f16 v74, v108, 0xbb9c, v45
	v_fmac_f16_e32 v45, 0x3b9c, v108
	v_fmamk_f16 v53, v66, 0xbb9c, v36
	v_fmac_f16_e32 v36, 0x3b9c, v66
	v_mad_u64_u32 v[33:34], null, s2, v40, 0
	v_add_f16_e32 v38, v90, v92
	v_fmac_f16_e32 v74, 0xb8b4, v73
	v_fmac_f16_e32 v45, 0x38b4, v73
	;; [unrolled: 1-line block ×4, first 2 shown]
	v_add_f16_e32 v39, v87, v18
	v_add_f16_e32 v41, v42, v9
	v_mov_b32_e32 v18, v30
	v_mov_b32_e32 v9, v32
	v_add_nc_u32_e32 v30, 0x3cf, v22
	v_add_co_u32 v42, vcc_lo, s12, v20
	v_fmac_f16_e32 v74, 0x34f2, v37
	v_fmac_f16_e32 v45, 0x34f2, v37
	;; [unrolled: 1-line block ×4, first 2 shown]
	v_add_co_ci_u32_e32 v59, vcc_lo, s13, v21, vcc_lo
	v_lshlrev_b64 v[17:18], 2, v[17:18]
	v_mad_u64_u32 v[20:21], null, s3, v35, v[9:10]
	v_mov_b32_e32 v9, v34
	v_mad_u64_u32 v[37:38], null, s2, v30, 0
	v_add_co_u32 v17, vcc_lo, v42, v17
	v_mad_u64_u32 v[34:35], null, s3, v40, v[9:10]
	v_add_co_ci_u32_e32 v18, vcc_lo, v59, v18, vcc_lo
	v_pack_b32_f16 v21, v41, v39
	v_mov_b32_e32 v32, v20
	v_mov_b32_e32 v9, v38
	v_add_nc_u32_e32 v35, 0x514, v22
	v_fmac_f16_e32 v15, 0x38b4, v75
	v_fmac_f16_e32 v27, 0xb8b4, v75
	v_fmamk_f16 v75, v72, 0xbb9c, v63
	v_fmac_f16_e32 v63, 0x3b9c, v72
	global_store_dword v[17:18], v21, off
	v_lshlrev_b64 v[17:18], 2, v[31:32]
	v_mad_u64_u32 v[20:21], null, s3, v30, v[9:10]
	v_lshlrev_b64 v[30:31], 2, v[33:34]
	v_mad_u64_u32 v[32:33], null, s2, v35, 0
	v_fmac_f16_e32 v75, 0x38b4, v76
	v_fmac_f16_e32 v63, 0xb8b4, v76
	v_fmamk_f16 v65, v96, 0x3b9c, v94
	v_fmamk_f16 v70, v101, 0xbb9c, v98
	v_fmac_f16_e32 v94, 0xbb9c, v96
	v_fmac_f16_e32 v98, 0x3b9c, v101
	v_mov_b32_e32 v38, v20
	v_mov_b32_e32 v9, v33
	v_fmac_f16_e32 v75, 0x34f2, v61
	v_fmac_f16_e32 v63, 0x34f2, v61
	v_mad_u64_u32 v[20:21], null, s2, v23, 0
	v_add_nc_u32_e32 v61, 0x186, v22
	v_fmac_f16_e32 v94, 0xb8b4, v95
	v_fmac_f16_e32 v98, 0x38b4, v102
	v_lshlrev_b64 v[33:34], 2, v[37:38]
	v_mad_u64_u32 v[37:38], null, s3, v35, v[9:10]
	v_add_co_u32 v17, vcc_lo, v42, v17
	v_mad_u64_u32 v[38:39], null, s2, v61, 0
	v_add_co_ci_u32_e32 v18, vcc_lo, v59, v18, vcc_lo
	v_fmac_f16_e32 v94, 0x34f2, v69
	v_fmac_f16_e32 v98, 0x34f2, v97
	v_add_co_u32 v30, vcc_lo, v42, v30
	v_mov_b32_e32 v9, v21
	v_add_co_ci_u32_e32 v31, vcc_lo, v59, v31, vcc_lo
	v_add_co_u32 v40, vcc_lo, v42, v33
	v_fmac_f16_e32 v16, 0x34f2, v60
	v_fmac_f16_e32 v19, 0x34f2, v60
	v_pack_b32_f16 v60, v98, v94
	v_add_co_ci_u32_e32 v41, vcc_lo, v59, v34, vcc_lo
	v_mad_u64_u32 v[34:35], null, s3, v23, v[9:10]
	v_mov_b32_e32 v9, v39
	v_pack_b32_f16 v50, v50, v99
	global_store_dword v[17:18], v60, off
	global_store_dword v[30:31], v50, off
	v_mad_u64_u32 v[30:31], null, s3, v61, v[9:10]
	v_add_nc_u32_e32 v23, 0x2cb, v22
	v_pack_b32_f16 v21, v58, v109
	v_mov_b32_e32 v33, v37
	v_fmac_f16_e32 v65, 0x38b4, v95
	v_fmac_f16_e32 v70, 0xb8b4, v102
	v_pack_b32_f16 v14, v52, v14
	v_mov_b32_e32 v39, v30
	v_mad_u64_u32 v[30:31], null, s2, v23, 0
	global_store_dword v[40:41], v21, off
	v_mov_b32_e32 v21, v34
	v_lshlrev_b64 v[17:18], 2, v[32:33]
	v_add_nc_u32_e32 v40, 0x410, v22
	v_lshlrev_b64 v[32:33], 2, v[38:39]
	v_fmac_f16_e32 v65, 0x34f2, v69
	v_lshlrev_b64 v[20:21], 2, v[20:21]
	v_mov_b32_e32 v9, v31
	v_add_co_u32 v17, vcc_lo, v42, v17
	v_fmac_f16_e32 v70, 0x34f2, v97
	v_add_co_ci_u32_e32 v18, vcc_lo, v59, v18, vcc_lo
	v_add_co_u32 v20, vcc_lo, v42, v20
	v_mad_u64_u32 v[34:35], null, s2, v40, 0
	v_add_nc_u32_e32 v52, 0x555, v22
	v_mad_u64_u32 v[22:23], null, s3, v23, v[9:10]
	v_mul_hi_u32 v23, 0xc9a633fd, v26
	v_add_co_ci_u32_e32 v21, vcc_lo, v59, v21, vcc_lo
	v_add_co_u32 v32, vcc_lo, v42, v32
	v_pack_b32_f16 v41, v70, v65
	v_pack_b32_f16 v50, v57, v54
	v_add_co_ci_u32_e32 v33, vcc_lo, v59, v33, vcc_lo
	v_mad_u64_u32 v[37:38], null, s2, v52, 0
	v_mov_b32_e32 v9, v35
	global_store_dword v[17:18], v41, off
	global_store_dword v[20:21], v50, off
	global_store_dword v[32:33], v14, off
	v_lshrrev_b32_e32 v14, 8, v23
	v_mov_b32_e32 v31, v22
	v_mad_u64_u32 v[39:40], null, s3, v40, v[9:10]
	v_mov_b32_e32 v9, v38
	v_mad_u32_u24 v26, 0x514, v14, v26
	v_lshlrev_b64 v[17:18], 2, v[30:31]
	v_fmac_f16_e32 v15, 0x34f2, v82
	v_fmac_f16_e32 v29, 0x38b4, v91
	v_mad_u64_u32 v[20:21], null, s3, v52, v[9:10]
	v_mad_u64_u32 v[21:22], null, s2, v26, 0
	v_mov_b32_e32 v35, v39
	v_add_nc_u32_e32 v40, 0x145, v26
	v_add_nc_u32_e32 v41, 0x28a, v26
	v_pack_b32_f16 v39, v8, v36
	v_mov_b32_e32 v38, v20
	v_lshlrev_b64 v[8:9], 2, v[34:35]
	v_mov_b32_e32 v14, v22
	v_mad_u64_u32 v[30:31], null, s2, v40, 0
	v_add_co_u32 v17, vcc_lo, v42, v17
	v_mad_u64_u32 v[32:33], null, s3, v26, v[14:15]
	v_mad_u64_u32 v[33:34], null, s2, v41, 0
	v_add_co_ci_u32_e32 v18, vcc_lo, v59, v18, vcc_lo
	v_lshlrev_b64 v[22:23], 2, v[37:38]
	v_add_co_u32 v8, vcc_lo, v42, v8
	v_add_co_ci_u32_e32 v9, vcc_lo, v59, v9, vcc_lo
	v_pack_b32_f16 v20, v55, v53
	v_mov_b32_e32 v14, v31
	v_add_co_u32 v35, vcc_lo, v42, v22
	global_store_dword v[17:18], v39, off
	global_store_dword v[8:9], v20, off
	v_mov_b32_e32 v8, v34
	v_add_co_ci_u32_e32 v36, vcc_lo, v59, v23, vcc_lo
	v_mad_u64_u32 v[37:38], null, s3, v40, v[14:15]
	v_pack_b32_f16 v14, v48, v47
	v_mad_u64_u32 v[8:9], null, s3, v41, v[8:9]
	v_mov_b32_e32 v22, v32
	v_add_nc_u32_e32 v32, 0x3cf, v26
	global_store_dword v[35:36], v14, off
	v_mul_hi_u32 v35, 0xc9a633fd, v25
	v_add_nc_u32_e32 v36, 0x514, v26
	v_lshlrev_b64 v[17:18], 2, v[21:22]
	v_mov_b32_e32 v31, v37
	v_mov_b32_e32 v34, v8
	v_mad_u64_u32 v[8:9], null, s2, v32, 0
	v_mad_u64_u32 v[22:23], null, s2, v36, 0
	v_lshrrev_b32_e32 v26, 8, v35
	v_lshlrev_b64 v[20:21], 2, v[30:31]
	v_add_co_u32 v17, vcc_lo, v42, v17
	v_lshlrev_b64 v[30:31], 2, v[33:34]
	v_mad_u32_u24 v38, 0x514, v26, v25
	v_mad_u64_u32 v[25:26], null, s3, v32, v[9:10]
	v_mov_b32_e32 v9, v23
	v_add_co_ci_u32_e32 v18, vcc_lo, v59, v18, vcc_lo
	v_add_co_u32 v20, vcc_lo, v42, v20
	v_mad_u64_u32 v[32:33], null, s2, v38, 0
	v_add_co_ci_u32_e32 v21, vcc_lo, v59, v21, vcc_lo
	v_mad_u64_u32 v[34:35], null, s3, v36, v[9:10]
	v_pack_b32_f16 v14, v51, v49
	v_add_co_u32 v30, vcc_lo, v42, v30
	v_pack_b32_f16 v37, v45, v44
	v_add_co_ci_u32_e32 v31, vcc_lo, v59, v31, vcc_lo
	v_pack_b32_f16 v23, v56, v63
	global_store_dword v[17:18], v14, off
	global_store_dword v[20:21], v37, off
	v_mov_b32_e32 v14, v33
	v_mov_b32_e32 v9, v25
	v_add_nc_u32_e32 v37, 0x3cf, v38
	global_store_dword v[30:31], v23, off
	v_mov_b32_e32 v23, v34
	v_add_nc_u32_e32 v30, 0x145, v38
	v_mad_u64_u32 v[17:18], null, s3, v38, v[14:15]
	v_lshlrev_b64 v[8:9], 2, v[8:9]
	v_lshlrev_b64 v[20:21], 2, v[22:23]
	v_mad_u64_u32 v[22:23], null, s2, v30, 0
	v_add_nc_u32_e32 v34, 0x28a, v38
	v_pack_b32_f16 v35, v84, v75
	v_add_co_u32 v8, vcc_lo, v42, v8
	v_mov_b32_e32 v33, v17
	v_add_co_ci_u32_e32 v9, vcc_lo, v59, v9, vcc_lo
	v_mov_b32_e32 v14, v23
	v_add_co_u32 v17, vcc_lo, v42, v20
	v_mad_u64_u32 v[25:26], null, s2, v34, 0
	v_add_co_ci_u32_e32 v18, vcc_lo, v59, v21, vcc_lo
	v_lshlrev_b64 v[20:21], 2, v[32:33]
	v_mad_u64_u32 v[30:31], null, s3, v30, v[14:15]
	v_mad_u64_u32 v[31:32], null, s2, v37, 0
	v_mov_b32_e32 v14, v26
	v_add_co_u32 v20, vcc_lo, v42, v20
	v_pack_b32_f16 v36, v74, v68
	v_add_co_ci_u32_e32 v21, vcc_lo, v59, v21, vcc_lo
	v_pack_b32_f16 v26, v46, v43
	v_mad_u64_u32 v[33:34], null, s3, v34, v[14:15]
	global_store_dword v[8:9], v35, off
	global_store_dword v[17:18], v36, off
	;; [unrolled: 1-line block ×3, first 2 shown]
	v_mov_b32_e32 v8, v32
	v_add_nc_u32_e32 v14, 0x514, v38
	v_mov_b32_e32 v23, v30
	v_fmac_f16_e32 v28, 0x34f2, v100
	v_fmac_f16_e32 v29, 0x34f2, v81
	v_mad_u64_u32 v[8:9], null, s3, v37, v[8:9]
	v_mad_u64_u32 v[20:21], null, s2, v14, 0
	v_mov_b32_e32 v26, v33
	v_lshlrev_b64 v[17:18], 2, v[22:23]
	v_fmac_f16_e32 v27, 0x34f2, v82
	v_pack_b32_f16 v28, v29, v28
	v_mov_b32_e32 v32, v8
	v_lshlrev_b64 v[22:23], 2, v[25:26]
	v_mov_b32_e32 v8, v21
	v_mul_hi_u32 v21, 0xc9a633fd, v24
	v_add_co_u32 v17, vcc_lo, v42, v17
	v_lshlrev_b64 v[25:26], 2, v[31:32]
	v_mad_u64_u32 v[8:9], null, s3, v14, v[8:9]
	v_add_co_ci_u32_e32 v18, vcc_lo, v59, v18, vcc_lo
	v_lshrrev_b32_e32 v9, 8, v21
	v_add_co_u32 v22, vcc_lo, v42, v22
	v_add_co_ci_u32_e32 v23, vcc_lo, v59, v23, vcc_lo
	v_add_co_u32 v25, vcc_lo, v42, v25
	v_mad_u32_u24 v24, 0x514, v9, v24
	v_pack_b32_f16 v19, v19, v27
	v_add_co_ci_u32_e32 v26, vcc_lo, v59, v26, vcc_lo
	v_pack_b32_f16 v14, v16, v15
	global_store_dword v[17:18], v28, off
	global_store_dword v[22:23], v19, off
	;; [unrolled: 1-line block ×3, first 2 shown]
	v_add_nc_u32_e32 v22, 0x145, v24
	v_add_nc_u32_e32 v23, 0x28a, v24
	v_fmac_f16_e32 v13, 0xb8b4, v91
	v_mad_u64_u32 v[14:15], null, s2, v24, 0
	v_mad_u64_u32 v[16:17], null, s2, v22, 0
	;; [unrolled: 1-line block ×3, first 2 shown]
	v_mov_b32_e32 v21, v8
	v_fmac_f16_e32 v12, 0x34f2, v100
	v_fmac_f16_e32 v13, 0x34f2, v81
	v_add_nc_u32_e32 v26, 0x3cf, v24
	v_fmac_f16_e32 v0, 0x34f2, v107
	v_lshlrev_b64 v[8:9], 2, v[20:21]
	v_mad_u64_u32 v[20:21], null, s3, v24, v[15:16]
	v_pack_b32_f16 v25, v13, v12
	v_mad_u64_u32 v[12:13], null, s3, v22, v[17:18]
	v_mov_b32_e32 v13, v19
	v_add_co_u32 v8, vcc_lo, v42, v8
	v_mov_b32_e32 v15, v20
	v_add_co_ci_u32_e32 v9, vcc_lo, v59, v9, vcc_lo
	v_mad_u64_u32 v[19:20], null, s3, v23, v[13:14]
	v_mad_u64_u32 v[21:22], null, s2, v26, 0
	v_add_nc_u32_e32 v20, 0x514, v24
	global_store_dword v[8:9], v25, off
	v_lshlrev_b64 v[8:9], 2, v[14:15]
	v_mov_b32_e32 v17, v12
	v_fmac_f16_e32 v5, 0x34f2, v107
	v_mad_u64_u32 v[13:14], null, s2, v20, 0
	v_mov_b32_e32 v12, v22
	v_add_co_u32 v8, vcc_lo, v42, v8
	v_add_co_ci_u32_e32 v9, vcc_lo, v59, v9, vcc_lo
	v_pack_b32_f16 v5, v7, v5
	v_mad_u64_u32 v[22:23], null, s3, v26, v[12:13]
	v_mov_b32_e32 v12, v14
	v_pack_b32_f16 v23, v11, v10
	v_lshlrev_b64 v[10:11], 2, v[16:17]
	v_lshlrev_b64 v[15:16], 2, v[18:19]
	v_pack_b32_f16 v4, v6, v4
	v_mad_u64_u32 v[17:18], null, s3, v20, v[12:13]
	v_pack_b32_f16 v12, v3, v2
	v_add_co_u32 v10, vcc_lo, v42, v10
	v_lshlrev_b64 v[2:3], 2, v[21:22]
	v_add_co_ci_u32_e32 v11, vcc_lo, v59, v11, vcc_lo
	v_mov_b32_e32 v14, v17
	v_add_co_u32 v15, vcc_lo, v42, v15
	v_pack_b32_f16 v17, v1, v0
	v_add_co_ci_u32_e32 v16, vcc_lo, v59, v16, vcc_lo
	v_lshlrev_b64 v[0:1], 2, v[13:14]
	v_add_co_u32 v2, vcc_lo, v42, v2
	v_add_co_ci_u32_e32 v3, vcc_lo, v59, v3, vcc_lo
	v_add_co_u32 v0, vcc_lo, v42, v0
	v_add_co_ci_u32_e32 v1, vcc_lo, v59, v1, vcc_lo
	global_store_dword v[8:9], v23, off
	global_store_dword v[10:11], v12, off
	;; [unrolled: 1-line block ×5, first 2 shown]
.LBB0_19:
	s_endpgm
	.section	.rodata,"a",@progbits
	.p2align	6, 0x0
	.amdhsa_kernel fft_rtc_fwd_len1625_factors_13_5_5_5_wgs_130_tpt_65_halfLds_half_ip_CI_sbrr_dirReg
		.amdhsa_group_segment_fixed_size 0
		.amdhsa_private_segment_fixed_size 0
		.amdhsa_kernarg_size 88
		.amdhsa_user_sgpr_count 6
		.amdhsa_user_sgpr_private_segment_buffer 1
		.amdhsa_user_sgpr_dispatch_ptr 0
		.amdhsa_user_sgpr_queue_ptr 0
		.amdhsa_user_sgpr_kernarg_segment_ptr 1
		.amdhsa_user_sgpr_dispatch_id 0
		.amdhsa_user_sgpr_flat_scratch_init 0
		.amdhsa_user_sgpr_private_segment_size 0
		.amdhsa_wavefront_size32 1
		.amdhsa_uses_dynamic_stack 0
		.amdhsa_system_sgpr_private_segment_wavefront_offset 0
		.amdhsa_system_sgpr_workgroup_id_x 1
		.amdhsa_system_sgpr_workgroup_id_y 0
		.amdhsa_system_sgpr_workgroup_id_z 0
		.amdhsa_system_sgpr_workgroup_info 0
		.amdhsa_system_vgpr_workitem_id 0
		.amdhsa_next_free_vgpr 111
		.amdhsa_next_free_sgpr 23
		.amdhsa_reserve_vcc 1
		.amdhsa_reserve_flat_scratch 0
		.amdhsa_float_round_mode_32 0
		.amdhsa_float_round_mode_16_64 0
		.amdhsa_float_denorm_mode_32 3
		.amdhsa_float_denorm_mode_16_64 3
		.amdhsa_dx10_clamp 1
		.amdhsa_ieee_mode 1
		.amdhsa_fp16_overflow 0
		.amdhsa_workgroup_processor_mode 1
		.amdhsa_memory_ordered 1
		.amdhsa_forward_progress 0
		.amdhsa_shared_vgpr_count 0
		.amdhsa_exception_fp_ieee_invalid_op 0
		.amdhsa_exception_fp_denorm_src 0
		.amdhsa_exception_fp_ieee_div_zero 0
		.amdhsa_exception_fp_ieee_overflow 0
		.amdhsa_exception_fp_ieee_underflow 0
		.amdhsa_exception_fp_ieee_inexact 0
		.amdhsa_exception_int_div_zero 0
	.end_amdhsa_kernel
	.text
.Lfunc_end0:
	.size	fft_rtc_fwd_len1625_factors_13_5_5_5_wgs_130_tpt_65_halfLds_half_ip_CI_sbrr_dirReg, .Lfunc_end0-fft_rtc_fwd_len1625_factors_13_5_5_5_wgs_130_tpt_65_halfLds_half_ip_CI_sbrr_dirReg
                                        ; -- End function
	.section	.AMDGPU.csdata,"",@progbits
; Kernel info:
; codeLenInByte = 18964
; NumSgprs: 25
; NumVgprs: 111
; ScratchSize: 0
; MemoryBound: 0
; FloatMode: 240
; IeeeMode: 1
; LDSByteSize: 0 bytes/workgroup (compile time only)
; SGPRBlocks: 3
; VGPRBlocks: 13
; NumSGPRsForWavesPerEU: 25
; NumVGPRsForWavesPerEU: 111
; Occupancy: 9
; WaveLimiterHint : 1
; COMPUTE_PGM_RSRC2:SCRATCH_EN: 0
; COMPUTE_PGM_RSRC2:USER_SGPR: 6
; COMPUTE_PGM_RSRC2:TRAP_HANDLER: 0
; COMPUTE_PGM_RSRC2:TGID_X_EN: 1
; COMPUTE_PGM_RSRC2:TGID_Y_EN: 0
; COMPUTE_PGM_RSRC2:TGID_Z_EN: 0
; COMPUTE_PGM_RSRC2:TIDIG_COMP_CNT: 0
	.text
	.p2alignl 6, 3214868480
	.fill 48, 4, 3214868480
	.type	__hip_cuid_f92633be17b18cdb,@object ; @__hip_cuid_f92633be17b18cdb
	.section	.bss,"aw",@nobits
	.globl	__hip_cuid_f92633be17b18cdb
__hip_cuid_f92633be17b18cdb:
	.byte	0                               ; 0x0
	.size	__hip_cuid_f92633be17b18cdb, 1

	.ident	"AMD clang version 19.0.0git (https://github.com/RadeonOpenCompute/llvm-project roc-6.4.0 25133 c7fe45cf4b819c5991fe208aaa96edf142730f1d)"
	.section	".note.GNU-stack","",@progbits
	.addrsig
	.addrsig_sym __hip_cuid_f92633be17b18cdb
	.amdgpu_metadata
---
amdhsa.kernels:
  - .args:
      - .actual_access:  read_only
        .address_space:  global
        .offset:         0
        .size:           8
        .value_kind:     global_buffer
      - .offset:         8
        .size:           8
        .value_kind:     by_value
      - .actual_access:  read_only
        .address_space:  global
        .offset:         16
        .size:           8
        .value_kind:     global_buffer
      - .actual_access:  read_only
        .address_space:  global
        .offset:         24
        .size:           8
        .value_kind:     global_buffer
      - .offset:         32
        .size:           8
        .value_kind:     by_value
      - .actual_access:  read_only
        .address_space:  global
        .offset:         40
        .size:           8
        .value_kind:     global_buffer
      - .actual_access:  read_only
        .address_space:  global
        .offset:         48
        .size:           8
        .value_kind:     global_buffer
      - .offset:         56
        .size:           4
        .value_kind:     by_value
      - .actual_access:  read_only
        .address_space:  global
        .offset:         64
        .size:           8
        .value_kind:     global_buffer
      - .actual_access:  read_only
        .address_space:  global
        .offset:         72
        .size:           8
        .value_kind:     global_buffer
      - .address_space:  global
        .offset:         80
        .size:           8
        .value_kind:     global_buffer
    .group_segment_fixed_size: 0
    .kernarg_segment_align: 8
    .kernarg_segment_size: 88
    .language:       OpenCL C
    .language_version:
      - 2
      - 0
    .max_flat_workgroup_size: 130
    .name:           fft_rtc_fwd_len1625_factors_13_5_5_5_wgs_130_tpt_65_halfLds_half_ip_CI_sbrr_dirReg
    .private_segment_fixed_size: 0
    .sgpr_count:     25
    .sgpr_spill_count: 0
    .symbol:         fft_rtc_fwd_len1625_factors_13_5_5_5_wgs_130_tpt_65_halfLds_half_ip_CI_sbrr_dirReg.kd
    .uniform_work_group_size: 1
    .uses_dynamic_stack: false
    .vgpr_count:     111
    .vgpr_spill_count: 0
    .wavefront_size: 32
    .workgroup_processor_mode: 1
amdhsa.target:   amdgcn-amd-amdhsa--gfx1030
amdhsa.version:
  - 1
  - 2
...

	.end_amdgpu_metadata
